;; amdgpu-corpus repo=ROCm/rocFFT kind=compiled arch=gfx906 opt=O3
	.text
	.amdgcn_target "amdgcn-amd-amdhsa--gfx906"
	.amdhsa_code_object_version 6
	.protected	fft_rtc_back_len2197_factors_13_13_13_wgs_169_tpt_169_halfLds_dp_op_CI_CI_sbrr_dirReg ; -- Begin function fft_rtc_back_len2197_factors_13_13_13_wgs_169_tpt_169_halfLds_dp_op_CI_CI_sbrr_dirReg
	.globl	fft_rtc_back_len2197_factors_13_13_13_wgs_169_tpt_169_halfLds_dp_op_CI_CI_sbrr_dirReg
	.p2align	8
	.type	fft_rtc_back_len2197_factors_13_13_13_wgs_169_tpt_169_halfLds_dp_op_CI_CI_sbrr_dirReg,@function
fft_rtc_back_len2197_factors_13_13_13_wgs_169_tpt_169_halfLds_dp_op_CI_CI_sbrr_dirReg: ; @fft_rtc_back_len2197_factors_13_13_13_wgs_169_tpt_169_halfLds_dp_op_CI_CI_sbrr_dirReg
; %bb.0:
	s_load_dwordx4 s[16:19], s[4:5], 0x18
	s_load_dwordx4 s[12:15], s[4:5], 0x0
	;; [unrolled: 1-line block ×3, first 2 shown]
	v_mul_u32_u24_e32 v1, 0x184, v0
	v_add_u32_sdwa v6, s6, v1 dst_sel:DWORD dst_unused:UNUSED_PAD src0_sel:DWORD src1_sel:WORD_1
	s_waitcnt lgkmcnt(0)
	s_load_dwordx2 s[20:21], s[16:17], 0x0
	s_load_dwordx2 s[2:3], s[18:19], 0x0
	v_cmp_lt_u64_e64 s[0:1], s[14:15], 2
	v_mov_b32_e32 v1, 0
	v_mov_b32_e32 v4, 0
	;; [unrolled: 1-line block ×3, first 2 shown]
	s_and_b64 vcc, exec, s[0:1]
	v_mov_b32_e32 v5, 0
	s_cbranch_vccnz .LBB0_8
; %bb.1:
	s_load_dwordx2 s[0:1], s[4:5], 0x10
	s_add_u32 s6, s18, 8
	s_addc_u32 s7, s19, 0
	s_add_u32 s22, s16, 8
	v_mov_b32_e32 v4, 0
	s_addc_u32 s23, s17, 0
	v_mov_b32_e32 v5, 0
	s_waitcnt lgkmcnt(0)
	s_add_u32 s24, s0, 8
	v_mov_b32_e32 v53, v5
	s_addc_u32 s25, s1, 0
	s_mov_b64 s[26:27], 1
	v_mov_b32_e32 v52, v4
.LBB0_2:                                ; =>This Inner Loop Header: Depth=1
	s_load_dwordx2 s[28:29], s[24:25], 0x0
                                        ; implicit-def: $vgpr54_vgpr55
	s_waitcnt lgkmcnt(0)
	v_or_b32_e32 v2, s29, v7
	v_cmp_ne_u64_e32 vcc, 0, v[1:2]
	s_and_saveexec_b64 s[0:1], vcc
	s_xor_b64 s[30:31], exec, s[0:1]
	s_cbranch_execz .LBB0_4
; %bb.3:                                ;   in Loop: Header=BB0_2 Depth=1
	v_cvt_f32_u32_e32 v2, s28
	v_cvt_f32_u32_e32 v3, s29
	s_sub_u32 s0, 0, s28
	s_subb_u32 s1, 0, s29
	v_mac_f32_e32 v2, 0x4f800000, v3
	v_rcp_f32_e32 v2, v2
	v_mul_f32_e32 v2, 0x5f7ffffc, v2
	v_mul_f32_e32 v3, 0x2f800000, v2
	v_trunc_f32_e32 v3, v3
	v_mac_f32_e32 v2, 0xcf800000, v3
	v_cvt_u32_f32_e32 v3, v3
	v_cvt_u32_f32_e32 v2, v2
	v_mul_lo_u32 v8, s0, v3
	v_mul_hi_u32 v9, s0, v2
	v_mul_lo_u32 v11, s1, v2
	v_mul_lo_u32 v10, s0, v2
	v_add_u32_e32 v8, v9, v8
	v_add_u32_e32 v8, v8, v11
	v_mul_hi_u32 v9, v2, v10
	v_mul_lo_u32 v11, v2, v8
	v_mul_hi_u32 v13, v2, v8
	v_mul_hi_u32 v12, v3, v10
	v_mul_lo_u32 v10, v3, v10
	v_mul_hi_u32 v14, v3, v8
	v_add_co_u32_e32 v9, vcc, v9, v11
	v_addc_co_u32_e32 v11, vcc, 0, v13, vcc
	v_mul_lo_u32 v8, v3, v8
	v_add_co_u32_e32 v9, vcc, v9, v10
	v_addc_co_u32_e32 v9, vcc, v11, v12, vcc
	v_addc_co_u32_e32 v10, vcc, 0, v14, vcc
	v_add_co_u32_e32 v8, vcc, v9, v8
	v_addc_co_u32_e32 v9, vcc, 0, v10, vcc
	v_add_co_u32_e32 v2, vcc, v2, v8
	v_addc_co_u32_e32 v3, vcc, v3, v9, vcc
	v_mul_lo_u32 v8, s0, v3
	v_mul_hi_u32 v9, s0, v2
	v_mul_lo_u32 v10, s1, v2
	v_mul_lo_u32 v11, s0, v2
	v_add_u32_e32 v8, v9, v8
	v_add_u32_e32 v8, v8, v10
	v_mul_lo_u32 v12, v2, v8
	v_mul_hi_u32 v13, v2, v11
	v_mul_hi_u32 v14, v2, v8
	;; [unrolled: 1-line block ×3, first 2 shown]
	v_mul_lo_u32 v11, v3, v11
	v_mul_hi_u32 v9, v3, v8
	v_add_co_u32_e32 v12, vcc, v13, v12
	v_addc_co_u32_e32 v13, vcc, 0, v14, vcc
	v_mul_lo_u32 v8, v3, v8
	v_add_co_u32_e32 v11, vcc, v12, v11
	v_addc_co_u32_e32 v10, vcc, v13, v10, vcc
	v_addc_co_u32_e32 v9, vcc, 0, v9, vcc
	v_add_co_u32_e32 v8, vcc, v10, v8
	v_addc_co_u32_e32 v9, vcc, 0, v9, vcc
	v_add_co_u32_e32 v8, vcc, v2, v8
	v_addc_co_u32_e32 v9, vcc, v3, v9, vcc
	v_mad_u64_u32 v[2:3], s[0:1], v6, v9, 0
	v_mul_hi_u32 v10, v6, v8
	v_add_co_u32_e32 v10, vcc, v10, v2
	v_addc_co_u32_e32 v11, vcc, 0, v3, vcc
	v_mad_u64_u32 v[2:3], s[0:1], v7, v8, 0
	v_mad_u64_u32 v[8:9], s[0:1], v7, v9, 0
	v_add_co_u32_e32 v2, vcc, v10, v2
	v_addc_co_u32_e32 v2, vcc, v11, v3, vcc
	v_addc_co_u32_e32 v3, vcc, 0, v9, vcc
	v_add_co_u32_e32 v8, vcc, v2, v8
	v_addc_co_u32_e32 v9, vcc, 0, v3, vcc
	v_mul_lo_u32 v10, s29, v8
	v_mul_lo_u32 v11, s28, v9
	v_mad_u64_u32 v[2:3], s[0:1], s28, v8, 0
	v_add3_u32 v3, v3, v11, v10
	v_sub_u32_e32 v10, v7, v3
	v_mov_b32_e32 v11, s29
	v_sub_co_u32_e32 v2, vcc, v6, v2
	v_subb_co_u32_e64 v10, s[0:1], v10, v11, vcc
	v_subrev_co_u32_e64 v11, s[0:1], s28, v2
	v_subbrev_co_u32_e64 v10, s[0:1], 0, v10, s[0:1]
	v_cmp_le_u32_e64 s[0:1], s29, v10
	v_cndmask_b32_e64 v12, 0, -1, s[0:1]
	v_cmp_le_u32_e64 s[0:1], s28, v11
	v_cndmask_b32_e64 v11, 0, -1, s[0:1]
	v_cmp_eq_u32_e64 s[0:1], s29, v10
	v_cndmask_b32_e64 v10, v12, v11, s[0:1]
	v_add_co_u32_e64 v11, s[0:1], 2, v8
	v_addc_co_u32_e64 v12, s[0:1], 0, v9, s[0:1]
	v_add_co_u32_e64 v13, s[0:1], 1, v8
	v_addc_co_u32_e64 v14, s[0:1], 0, v9, s[0:1]
	v_subb_co_u32_e32 v3, vcc, v7, v3, vcc
	v_cmp_ne_u32_e64 s[0:1], 0, v10
	v_cmp_le_u32_e32 vcc, s29, v3
	v_cndmask_b32_e64 v10, v14, v12, s[0:1]
	v_cndmask_b32_e64 v12, 0, -1, vcc
	v_cmp_le_u32_e32 vcc, s28, v2
	v_cndmask_b32_e64 v2, 0, -1, vcc
	v_cmp_eq_u32_e32 vcc, s29, v3
	v_cndmask_b32_e32 v2, v12, v2, vcc
	v_cmp_ne_u32_e32 vcc, 0, v2
	v_cndmask_b32_e64 v2, v13, v11, s[0:1]
	v_cndmask_b32_e32 v55, v9, v10, vcc
	v_cndmask_b32_e32 v54, v8, v2, vcc
.LBB0_4:                                ;   in Loop: Header=BB0_2 Depth=1
	s_andn2_saveexec_b64 s[0:1], s[30:31]
	s_cbranch_execz .LBB0_6
; %bb.5:                                ;   in Loop: Header=BB0_2 Depth=1
	v_cvt_f32_u32_e32 v2, s28
	s_sub_i32 s30, 0, s28
	v_mov_b32_e32 v55, v1
	v_rcp_iflag_f32_e32 v2, v2
	v_mul_f32_e32 v2, 0x4f7ffffe, v2
	v_cvt_u32_f32_e32 v2, v2
	v_mul_lo_u32 v3, s30, v2
	v_mul_hi_u32 v3, v2, v3
	v_add_u32_e32 v2, v2, v3
	v_mul_hi_u32 v2, v6, v2
	v_mul_lo_u32 v3, v2, s28
	v_add_u32_e32 v8, 1, v2
	v_sub_u32_e32 v3, v6, v3
	v_subrev_u32_e32 v9, s28, v3
	v_cmp_le_u32_e32 vcc, s28, v3
	v_cndmask_b32_e32 v3, v3, v9, vcc
	v_cndmask_b32_e32 v2, v2, v8, vcc
	v_add_u32_e32 v8, 1, v2
	v_cmp_le_u32_e32 vcc, s28, v3
	v_cndmask_b32_e32 v54, v2, v8, vcc
.LBB0_6:                                ;   in Loop: Header=BB0_2 Depth=1
	s_or_b64 exec, exec, s[0:1]
	v_mul_lo_u32 v8, v55, s28
	v_mul_lo_u32 v9, v54, s29
	v_mad_u64_u32 v[2:3], s[0:1], v54, s28, 0
	s_load_dwordx2 s[0:1], s[22:23], 0x0
	s_load_dwordx2 s[28:29], s[6:7], 0x0
	v_add3_u32 v3, v3, v9, v8
	v_sub_co_u32_e32 v2, vcc, v6, v2
	v_subb_co_u32_e32 v3, vcc, v7, v3, vcc
	s_waitcnt lgkmcnt(0)
	v_mul_lo_u32 v6, s0, v3
	v_mul_lo_u32 v7, s1, v2
	v_mad_u64_u32 v[4:5], s[0:1], s0, v2, v[4:5]
	v_mul_lo_u32 v3, s28, v3
	v_mul_lo_u32 v8, s29, v2
	v_mad_u64_u32 v[52:53], s[0:1], s28, v2, v[52:53]
	s_add_u32 s26, s26, 1
	s_addc_u32 s27, s27, 0
	s_add_u32 s6, s6, 8
	v_add3_u32 v53, v8, v53, v3
	s_addc_u32 s7, s7, 0
	v_mov_b32_e32 v2, s14
	s_add_u32 s22, s22, 8
	v_mov_b32_e32 v3, s15
	s_addc_u32 s23, s23, 0
	v_cmp_ge_u64_e32 vcc, s[26:27], v[2:3]
	s_add_u32 s24, s24, 8
	v_add3_u32 v5, v7, v5, v6
	s_addc_u32 s25, s25, 0
	s_cbranch_vccnz .LBB0_9
; %bb.7:                                ;   in Loop: Header=BB0_2 Depth=1
	v_mov_b32_e32 v6, v54
	v_mov_b32_e32 v7, v55
	s_branch .LBB0_2
.LBB0_8:
	v_mov_b32_e32 v53, v5
	v_mov_b32_e32 v55, v7
	;; [unrolled: 1-line block ×4, first 2 shown]
.LBB0_9:
	s_load_dwordx2 s[0:1], s[4:5], 0x28
	s_lshl_b64 s[14:15], s[14:15], 3
	s_add_u32 s4, s18, s14
	s_addc_u32 s5, s19, s15
                                        ; implicit-def: $sgpr18
                                        ; implicit-def: $vgpr72
	s_waitcnt lgkmcnt(0)
	v_cmp_gt_u64_e32 vcc, s[0:1], v[54:55]
	v_cmp_le_u64_e64 s[0:1], s[0:1], v[54:55]
	s_and_saveexec_b64 s[6:7], s[0:1]
	s_xor_b64 s[0:1], exec, s[6:7]
; %bb.10:
	s_mov_b32 s6, 0x183c978
	v_mul_hi_u32 v1, v0, s6
	s_mov_b32 s18, 0
                                        ; implicit-def: $vgpr4_vgpr5
	v_mul_u32_u24_e32 v1, 0xa9, v1
	v_sub_u32_e32 v72, v0, v1
                                        ; implicit-def: $vgpr0
; %bb.11:
	s_or_saveexec_b64 s[6:7], s[0:1]
	v_mov_b32_e32 v132, s18
                                        ; implicit-def: $vgpr46_vgpr47
                                        ; implicit-def: $vgpr42_vgpr43
                                        ; implicit-def: $vgpr30_vgpr31
                                        ; implicit-def: $vgpr22_vgpr23
                                        ; implicit-def: $vgpr14_vgpr15
                                        ; implicit-def: $vgpr6_vgpr7
                                        ; implicit-def: $vgpr2_vgpr3
                                        ; implicit-def: $vgpr10_vgpr11
                                        ; implicit-def: $vgpr18_vgpr19
                                        ; implicit-def: $vgpr26_vgpr27
                                        ; implicit-def: $vgpr38_vgpr39
                                        ; implicit-def: $vgpr50_vgpr51
                                        ; implicit-def: $vgpr34_vgpr35
	s_xor_b64 exec, exec, s[6:7]
	s_cbranch_execz .LBB0_13
; %bb.12:
	s_add_u32 s0, s16, s14
	s_mov_b32 s14, 0x183c978
	s_addc_u32 s1, s17, s15
	v_mul_hi_u32 v1, v0, s14
	s_load_dwordx2 s[0:1], s[0:1], 0x0
	v_mul_u32_u24_e32 v1, 0xa9, v1
	v_sub_u32_e32 v72, v0, v1
	s_waitcnt lgkmcnt(0)
	v_mul_lo_u32 v8, s1, v54
	v_mad_u64_u32 v[0:1], s[14:15], s20, v72, 0
	v_mul_lo_u32 v9, s0, v55
	v_mad_u64_u32 v[2:3], s[0:1], s0, v54, 0
	v_mov_b32_e32 v132, v72
	v_mad_u64_u32 v[6:7], s[0:1], s21, v72, v[1:2]
	v_add3_u32 v3, v3, v9, v8
	v_lshlrev_b64 v[2:3], 4, v[2:3]
	v_mov_b32_e32 v1, v6
	v_mov_b32_e32 v6, s9
	v_add_co_u32_e64 v7, s[0:1], s8, v2
	v_add_u32_e32 v8, 0xa9, v72
	v_addc_co_u32_e64 v6, s[0:1], v6, v3, s[0:1]
	v_lshlrev_b64 v[2:3], 4, v[4:5]
	v_mad_u64_u32 v[4:5], s[0:1], s20, v8, 0
	v_add_co_u32_e64 v9, s[0:1], v7, v2
	v_mov_b32_e32 v2, v5
	v_addc_co_u32_e64 v10, s[0:1], v6, v3, s[0:1]
	v_mad_u64_u32 v[2:3], s[0:1], s21, v8, v[2:3]
	v_add_u32_e32 v3, 0x152, v72
	v_mad_u64_u32 v[6:7], s[0:1], s20, v3, 0
	v_lshlrev_b64 v[0:1], 4, v[0:1]
	v_mov_b32_e32 v5, v2
	v_add_co_u32_e64 v56, s[0:1], v9, v0
	v_mov_b32_e32 v2, v7
	v_addc_co_u32_e64 v57, s[0:1], v10, v1, s[0:1]
	v_lshlrev_b64 v[0:1], 4, v[4:5]
	v_mad_u64_u32 v[2:3], s[0:1], s21, v3, v[2:3]
	v_add_u32_e32 v5, 0x1fb, v72
	v_mad_u64_u32 v[3:4], s[0:1], s20, v5, 0
	v_add_co_u32_e64 v58, s[0:1], v9, v0
	v_mov_b32_e32 v7, v2
	v_mov_b32_e32 v2, v4
	v_addc_co_u32_e64 v59, s[0:1], v10, v1, s[0:1]
	v_lshlrev_b64 v[0:1], 4, v[6:7]
	v_mad_u64_u32 v[4:5], s[0:1], s21, v5, v[2:3]
	v_add_u32_e32 v7, 0x2a4, v72
	v_mad_u64_u32 v[5:6], s[0:1], s20, v7, 0
	v_add_co_u32_e64 v60, s[0:1], v9, v0
	v_mov_b32_e32 v2, v6
	v_addc_co_u32_e64 v61, s[0:1], v10, v1, s[0:1]
	v_lshlrev_b64 v[0:1], 4, v[3:4]
	v_mad_u64_u32 v[2:3], s[0:1], s21, v7, v[2:3]
	v_add_u32_e32 v7, 0x34d, v72
	v_mad_u64_u32 v[3:4], s[0:1], s20, v7, 0
	v_add_co_u32_e64 v62, s[0:1], v9, v0
	v_mov_b32_e32 v6, v2
	v_mov_b32_e32 v2, v4
	v_addc_co_u32_e64 v63, s[0:1], v10, v1, s[0:1]
	v_lshlrev_b64 v[0:1], 4, v[5:6]
	v_mad_u64_u32 v[4:5], s[0:1], s21, v7, v[2:3]
	v_add_u32_e32 v7, 0x3f6, v72
	v_mad_u64_u32 v[5:6], s[0:1], s20, v7, 0
	;; [unrolled: 15-line block ×5, first 2 shown]
	v_add_co_u32_e64 v77, s[0:1], v9, v0
	v_mov_b32_e32 v2, v6
	v_addc_co_u32_e64 v78, s[0:1], v10, v1, s[0:1]
	v_lshlrev_b64 v[0:1], 4, v[3:4]
	v_mad_u64_u32 v[2:3], s[0:1], s21, v7, v[2:3]
	v_add_co_u32_e64 v79, s[0:1], v9, v0
	v_mov_b32_e32 v6, v2
	v_addc_co_u32_e64 v80, s[0:1], v10, v1, s[0:1]
	v_lshlrev_b64 v[0:1], 4, v[5:6]
	v_add_co_u32_e64 v81, s[0:1], v9, v0
	v_addc_co_u32_e64 v82, s[0:1], v10, v1, s[0:1]
	global_load_dwordx4 v[32:35], v[56:57], off
	global_load_dwordx4 v[48:51], v[58:59], off
	;; [unrolled: 1-line block ×13, first 2 shown]
.LBB0_13:
	s_or_b64 exec, exec, s[6:7]
	s_waitcnt vmcnt(11)
	v_add_f64 v[56:57], v[48:49], v[32:33]
	v_add_f64 v[58:59], v[50:51], v[34:35]
	s_waitcnt vmcnt(0)
	v_add_f64 v[60:61], v[44:45], v[48:49]
	v_add_f64 v[64:65], v[48:49], -v[44:45]
	v_add_f64 v[62:63], v[46:47], v[50:51]
	v_add_f64 v[50:51], v[50:51], -v[46:47]
	s_mov_b32 s20, 0x2ef20147
	s_mov_b32 s22, 0x24c2f84
	v_add_f64 v[48:49], v[36:37], v[56:57]
	v_add_f64 v[56:57], v[38:39], v[58:59]
	s_mov_b32 s21, 0xbfedeba7
	s_mov_b32 s23, 0xbfe5384d
	v_mul_f64 v[79:80], v[64:65], s[20:21]
	v_mul_f64 v[77:78], v[50:51], s[20:21]
	;; [unrolled: 1-line block ×4, first 2 shown]
	v_add_f64 v[48:49], v[24:25], v[48:49]
	v_add_f64 v[56:57], v[26:27], v[56:57]
	s_mov_b32 s8, 0xb2365da1
	s_mov_b32 s16, 0xd0032e0c
	;; [unrolled: 1-line block ×4, first 2 shown]
	v_fma_f64 v[97:98], v[60:61], s[8:9], v[77:78]
	v_fma_f64 v[99:100], v[62:63], s[8:9], -v[79:80]
	v_add_f64 v[48:49], v[16:17], v[48:49]
	v_add_f64 v[56:57], v[18:19], v[56:57]
	v_fma_f64 v[101:102], v[60:61], s[16:17], v[81:82]
	v_fma_f64 v[103:104], v[62:63], s[16:17], -v[83:84]
	s_mov_b32 s26, 0x4267c47c
	s_mov_b32 s18, 0x42a4c3d2
	;; [unrolled: 1-line block ×4, first 2 shown]
	v_add_f64 v[48:49], v[8:9], v[48:49]
	v_add_f64 v[56:57], v[10:11], v[56:57]
	s_mov_b32 s27, 0xbfddbe06
	s_mov_b32 s19, 0xbfea55e2
	;; [unrolled: 1-line block ×4, first 2 shown]
	v_mul_f64 v[58:59], v[50:51], s[26:27]
	v_mul_f64 v[66:67], v[64:65], s[26:27]
	v_add_f64 v[48:49], v[0:1], v[48:49]
	v_add_f64 v[56:57], v[2:3], v[56:57]
	v_mul_f64 v[68:69], v[50:51], s[18:19]
	v_mul_f64 v[70:71], v[64:65], s[18:19]
	;; [unrolled: 1-line block ×6, first 2 shown]
	v_add_f64 v[48:49], v[4:5], v[48:49]
	v_add_f64 v[56:57], v[6:7], v[56:57]
	s_load_dwordx2 s[0:1], s[4:5], 0x0
	s_mov_b32 s24, 0xe00740e9
	s_mov_b32 s4, 0x1ea71119
	;; [unrolled: 1-line block ×5, first 2 shown]
	v_add_f64 v[48:49], v[12:13], v[48:49]
	v_add_f64 v[56:57], v[14:15], v[56:57]
	s_mov_b32 s5, 0x3fe22d96
	s_mov_b32 s7, 0x3fbedb7d
	;; [unrolled: 1-line block ×3, first 2 shown]
	v_fma_f64 v[85:86], v[60:61], s[24:25], v[58:59]
	v_fma_f64 v[87:88], v[62:63], s[24:25], -v[66:67]
	v_fma_f64 v[58:59], v[60:61], s[24:25], -v[58:59]
	v_add_f64 v[48:49], v[20:21], v[48:49]
	v_add_f64 v[56:57], v[22:23], v[56:57]
	v_fma_f64 v[66:67], v[62:63], s[24:25], v[66:67]
	v_fma_f64 v[89:90], v[60:61], s[4:5], v[68:69]
	v_fma_f64 v[91:92], v[62:63], s[4:5], -v[70:71]
	v_fma_f64 v[68:69], v[60:61], s[4:5], -v[68:69]
	v_fma_f64 v[70:71], v[62:63], s[4:5], v[70:71]
	v_fma_f64 v[93:94], v[60:61], s[6:7], v[73:74]
	v_add_f64 v[48:49], v[28:29], v[48:49]
	v_add_f64 v[56:57], v[30:31], v[56:57]
	v_fma_f64 v[95:96], v[62:63], s[6:7], -v[75:76]
	v_fma_f64 v[73:74], v[60:61], s[6:7], -v[73:74]
	v_fma_f64 v[75:76], v[62:63], s[6:7], v[75:76]
	v_fma_f64 v[77:78], v[60:61], s[8:9], -v[77:78]
	v_fma_f64 v[79:80], v[62:63], s[8:9], v[79:80]
	v_fma_f64 v[81:82], v[60:61], s[16:17], -v[81:82]
	v_add_f64 v[48:49], v[40:41], v[48:49]
	v_add_f64 v[56:57], v[42:43], v[56:57]
	v_fma_f64 v[83:84], v[62:63], s[16:17], v[83:84]
	v_fma_f64 v[105:106], v[60:61], s[28:29], v[50:51]
	v_fma_f64 v[107:108], v[62:63], s[28:29], -v[64:65]
	v_fma_f64 v[50:51], v[60:61], s[28:29], -v[50:51]
	v_fma_f64 v[60:61], v[62:63], s[28:29], v[64:65]
	v_add_f64 v[85:86], v[32:33], v[85:86]
	v_add_f64 v[48:49], v[44:45], v[48:49]
	v_add_f64 v[44:45], v[46:47], v[56:57]
	v_add_f64 v[46:47], v[32:33], v[97:98]
	v_add_f64 v[56:57], v[34:35], v[99:100]
	v_add_f64 v[97:98], v[32:33], v[101:102]
	v_add_f64 v[99:100], v[34:35], v[103:104]
	v_add_f64 v[101:102], v[38:39], -v[42:43]
	v_add_f64 v[103:104], v[36:37], -v[40:41]
	v_add_f64 v[36:37], v[40:41], v[36:37]
	v_add_f64 v[38:39], v[42:43], v[38:39]
	;; [unrolled: 1-line block ×6, first 2 shown]
	v_mul_f64 v[40:41], v[101:102], s[18:19]
	v_mul_f64 v[42:43], v[103:104], s[18:19]
	v_add_f64 v[91:92], v[34:35], v[91:92]
	v_add_f64 v[68:69], v[32:33], v[68:69]
	;; [unrolled: 1-line block ×11, first 2 shown]
	v_fma_f64 v[81:82], v[36:37], s[4:5], v[40:41]
	v_fma_f64 v[83:84], v[38:39], s[4:5], -v[42:43]
	v_add_f64 v[105:106], v[32:33], v[105:106]
	v_add_f64 v[107:108], v[34:35], v[107:108]
	;; [unrolled: 1-line block ×4, first 2 shown]
	v_mul_f64 v[50:51], v[101:102], s[20:21]
	v_mul_f64 v[60:61], v[103:104], s[20:21]
	v_add_f64 v[81:82], v[81:82], v[85:86]
	v_add_f64 v[83:84], v[83:84], v[87:88]
	v_mul_f64 v[85:86], v[101:102], s[30:31]
	v_mul_f64 v[87:88], v[103:104], s[30:31]
	v_fma_f64 v[40:41], v[36:37], s[4:5], -v[40:41]
	v_fma_f64 v[42:43], v[38:39], s[4:5], v[42:43]
	v_fma_f64 v[109:110], v[36:37], s[8:9], v[50:51]
	v_fma_f64 v[111:112], v[38:39], s[8:9], -v[60:61]
	s_mov_b32 s37, 0x3fe5384d
	s_mov_b32 s36, s22
	v_fma_f64 v[50:51], v[36:37], s[8:9], -v[50:51]
	v_fma_f64 v[60:61], v[38:39], s[8:9], v[60:61]
	v_fma_f64 v[113:114], v[36:37], s[28:29], v[85:86]
	v_fma_f64 v[115:116], v[38:39], s[28:29], -v[87:88]
	v_add_f64 v[40:41], v[40:41], v[58:59]
	v_add_f64 v[42:43], v[42:43], v[66:67]
	;; [unrolled: 1-line block ×4, first 2 shown]
	v_mul_f64 v[89:90], v[101:102], s[36:37]
	v_mul_f64 v[91:92], v[103:104], s[36:37]
	s_mov_b32 s35, 0x3fefc445
	s_mov_b32 s34, s14
	v_add_f64 v[50:51], v[50:51], v[68:69]
	v_add_f64 v[60:61], v[60:61], v[70:71]
	;; [unrolled: 1-line block ×4, first 2 shown]
	v_mul_f64 v[93:94], v[101:102], s[34:35]
	v_mul_f64 v[95:96], v[103:104], s[34:35]
	v_fma_f64 v[109:110], v[36:37], s[16:17], v[89:90]
	v_fma_f64 v[111:112], v[38:39], s[16:17], -v[91:92]
	v_fma_f64 v[89:90], v[36:37], s[16:17], -v[89:90]
	v_fma_f64 v[91:92], v[38:39], s[16:17], v[91:92]
	v_fma_f64 v[85:86], v[36:37], s[28:29], -v[85:86]
	v_fma_f64 v[87:88], v[38:39], s[28:29], v[87:88]
	v_fma_f64 v[113:114], v[36:37], s[6:7], v[93:94]
	v_fma_f64 v[115:116], v[38:39], s[6:7], -v[95:96]
	s_mov_b32 s39, 0x3fddbe06
	s_mov_b32 s38, s26
	v_add_f64 v[77:78], v[89:90], v[77:78]
	v_add_f64 v[79:80], v[91:92], v[79:80]
	v_add_f64 v[89:90], v[26:27], -v[30:31]
	v_add_f64 v[91:92], v[24:25], -v[28:29]
	v_add_f64 v[73:74], v[85:86], v[73:74]
	v_add_f64 v[75:76], v[87:88], v[75:76]
	v_add_f64 v[85:86], v[113:114], v[97:98]
	v_add_f64 v[87:88], v[115:116], v[99:100]
	v_mul_f64 v[97:98], v[101:102], s[38:39]
	v_mul_f64 v[99:100], v[103:104], s[38:39]
	v_add_f64 v[24:25], v[28:29], v[24:25]
	v_add_f64 v[26:27], v[30:31], v[26:27]
	v_mul_f64 v[28:29], v[89:90], s[14:15]
	v_mul_f64 v[30:31], v[91:92], s[14:15]
	v_fma_f64 v[93:94], v[36:37], s[6:7], -v[93:94]
	v_fma_f64 v[95:96], v[38:39], s[6:7], v[95:96]
	v_fma_f64 v[101:102], v[36:37], s[24:25], v[97:98]
	v_fma_f64 v[103:104], v[38:39], s[24:25], -v[99:100]
	v_fma_f64 v[36:37], v[36:37], s[24:25], -v[97:98]
	v_fma_f64 v[38:39], v[38:39], s[24:25], v[99:100]
	v_fma_f64 v[97:98], v[24:25], s[6:7], v[28:29]
	v_fma_f64 v[99:100], v[26:27], s[6:7], -v[30:31]
	s_mov_b32 s41, 0x3fedeba7
	s_mov_b32 s40, s20
	v_fma_f64 v[28:29], v[24:25], s[6:7], -v[28:29]
	v_fma_f64 v[30:31], v[26:27], s[6:7], v[30:31]
	v_add_f64 v[32:33], v[36:37], v[32:33]
	v_add_f64 v[34:35], v[38:39], v[34:35]
	;; [unrolled: 1-line block ×4, first 2 shown]
	v_mul_f64 v[81:82], v[89:90], s[30:31]
	v_mul_f64 v[83:84], v[91:92], s[30:31]
	v_mul_f64 v[97:98], v[89:90], s[40:41]
	v_mul_f64 v[99:100], v[91:92], s[40:41]
	v_add_f64 v[62:63], v[93:94], v[62:63]
	v_add_f64 v[64:65], v[95:96], v[64:65]
	;; [unrolled: 1-line block ×4, first 2 shown]
	v_fma_f64 v[101:102], v[24:25], s[28:29], v[81:82]
	v_fma_f64 v[103:104], v[26:27], s[28:29], -v[83:84]
	v_fma_f64 v[81:82], v[24:25], s[28:29], -v[81:82]
	v_fma_f64 v[83:84], v[26:27], s[28:29], v[83:84]
	v_add_f64 v[28:29], v[28:29], v[40:41]
	v_add_f64 v[30:31], v[30:31], v[42:43]
	v_fma_f64 v[40:41], v[24:25], s[8:9], v[97:98]
	v_fma_f64 v[42:43], v[26:27], s[8:9], -v[99:100]
	v_add_f64 v[58:59], v[101:102], v[58:59]
	v_add_f64 v[66:67], v[103:104], v[66:67]
	;; [unrolled: 1-line block ×4, first 2 shown]
	v_mul_f64 v[81:82], v[89:90], s[38:39]
	v_mul_f64 v[83:84], v[91:92], s[38:39]
	v_add_f64 v[40:41], v[40:41], v[68:69]
	v_add_f64 v[42:43], v[42:43], v[70:71]
	v_fma_f64 v[68:69], v[24:25], s[8:9], -v[97:98]
	v_fma_f64 v[70:71], v[26:27], s[8:9], v[99:100]
	v_mul_f64 v[97:98], v[89:90], s[18:19]
	v_mul_f64 v[99:100], v[91:92], s[18:19]
	v_fma_f64 v[101:102], v[24:25], s[24:25], v[81:82]
	v_fma_f64 v[103:104], v[26:27], s[24:25], -v[83:84]
	v_fma_f64 v[81:82], v[24:25], s[24:25], -v[81:82]
	v_fma_f64 v[83:84], v[26:27], s[24:25], v[83:84]
	v_add_f64 v[68:69], v[68:69], v[73:74]
	v_add_f64 v[70:71], v[70:71], v[75:76]
	v_fma_f64 v[73:74], v[24:25], s[4:5], v[97:98]
	v_fma_f64 v[75:76], v[26:27], s[4:5], -v[99:100]
	s_mov_b32 s45, 0x3fcea1e5
	s_mov_b32 s44, s30
	v_add_f64 v[77:78], v[81:82], v[77:78]
	v_add_f64 v[79:80], v[83:84], v[79:80]
	v_mul_f64 v[81:82], v[89:90], s[22:23]
	v_mul_f64 v[83:84], v[91:92], s[22:23]
	v_add_f64 v[73:74], v[73:74], v[85:86]
	v_add_f64 v[75:76], v[75:76], v[87:88]
	v_add_f64 v[85:86], v[18:19], -v[22:23]
	v_add_f64 v[87:88], v[16:17], -v[20:21]
	v_fma_f64 v[89:90], v[24:25], s[4:5], -v[97:98]
	v_fma_f64 v[91:92], v[26:27], s[4:5], v[99:100]
	v_fma_f64 v[97:98], v[24:25], s[16:17], v[81:82]
	v_fma_f64 v[99:100], v[26:27], s[16:17], -v[83:84]
	v_add_f64 v[16:17], v[20:21], v[16:17]
	v_add_f64 v[18:19], v[22:23], v[18:19]
	v_mul_f64 v[20:21], v[85:86], s[20:21]
	v_mul_f64 v[22:23], v[87:88], s[20:21]
	v_fma_f64 v[24:25], v[24:25], s[16:17], -v[81:82]
	v_fma_f64 v[26:27], v[26:27], s[16:17], v[83:84]
	v_add_f64 v[62:63], v[89:90], v[62:63]
	v_add_f64 v[64:65], v[91:92], v[64:65]
	;; [unrolled: 1-line block ×4, first 2 shown]
	v_fma_f64 v[89:90], v[16:17], s[8:9], v[20:21]
	v_fma_f64 v[91:92], v[18:19], s[8:9], -v[22:23]
	v_add_f64 v[24:25], v[24:25], v[32:33]
	v_add_f64 v[32:33], v[26:27], v[34:35]
	v_mul_f64 v[26:27], v[85:86], s[36:37]
	v_mul_f64 v[34:35], v[87:88], s[36:37]
	v_fma_f64 v[20:21], v[16:17], s[8:9], -v[20:21]
	v_add_f64 v[83:84], v[99:100], v[95:96]
	v_fma_f64 v[22:23], v[18:19], s[8:9], v[22:23]
	v_add_f64 v[38:39], v[91:92], v[38:39]
	v_mul_f64 v[91:92], v[87:88], s[38:39]
	v_add_f64 v[36:37], v[89:90], v[36:37]
	v_fma_f64 v[93:94], v[16:17], s[16:17], v[26:27]
	v_fma_f64 v[26:27], v[16:17], s[16:17], -v[26:27]
	v_add_f64 v[20:21], v[20:21], v[28:29]
	v_fma_f64 v[28:29], v[18:19], s[16:17], v[34:35]
	v_mul_f64 v[89:90], v[85:86], s[38:39]
	v_fma_f64 v[95:96], v[18:19], s[16:17], -v[34:35]
	v_fma_f64 v[34:35], v[18:19], s[24:25], -v[91:92]
	v_add_f64 v[56:57], v[111:112], v[56:57]
	v_add_f64 v[93:94], v[93:94], v[58:59]
	v_mul_f64 v[58:59], v[85:86], s[14:15]
	v_add_f64 v[97:98], v[26:27], v[50:51]
	v_add_f64 v[99:100], v[28:29], v[60:61]
	v_fma_f64 v[28:29], v[18:19], s[24:25], v[91:92]
	v_mul_f64 v[50:51], v[87:88], s[44:45]
	v_add_f64 v[46:47], v[101:102], v[46:47]
	v_add_f64 v[22:23], v[22:23], v[30:31]
	v_fma_f64 v[30:31], v[16:17], s[24:25], v[89:90]
	v_add_f64 v[95:96], v[95:96], v[66:67]
	v_mul_f64 v[66:67], v[87:88], s[14:15]
	v_add_f64 v[101:102], v[34:35], v[42:43]
	v_fma_f64 v[26:27], v[16:17], s[24:25], -v[89:90]
	v_fma_f64 v[34:35], v[16:17], s[6:7], v[58:59]
	v_mul_f64 v[42:43], v[85:86], s[44:45]
	v_add_f64 v[91:92], v[28:29], v[70:71]
	v_fma_f64 v[28:29], v[18:19], s[28:29], -v[50:51]
	s_mov_b32 s43, 0x3fea55e2
	s_mov_b32 s42, s18
	v_add_f64 v[56:57], v[103:104], v[56:57]
	v_add_f64 v[30:31], v[30:31], v[40:41]
	v_fma_f64 v[40:41], v[18:19], s[6:7], -v[66:67]
	v_fma_f64 v[60:61], v[18:19], s[6:7], v[66:67]
	v_add_f64 v[89:90], v[26:27], v[68:69]
	v_add_f64 v[103:104], v[34:35], v[46:47]
	v_fma_f64 v[26:27], v[16:17], s[28:29], v[42:43]
	v_mul_f64 v[34:35], v[85:86], s[42:43]
	v_mul_f64 v[46:47], v[87:88], s[42:43]
	v_add_f64 v[66:67], v[28:29], v[75:76]
	v_add_f64 v[75:76], v[10:11], -v[14:15]
	v_add_f64 v[105:106], v[40:41], v[56:57]
	v_add_f64 v[85:86], v[8:9], -v[12:13]
	v_fma_f64 v[28:29], v[18:19], s[28:29], v[50:51]
	v_add_f64 v[73:74], v[26:27], v[73:74]
	v_fma_f64 v[26:27], v[16:17], s[28:29], -v[42:43]
	v_add_f64 v[40:41], v[12:13], v[8:9]
	v_add_f64 v[42:43], v[14:15], v[10:11]
	v_mul_f64 v[8:9], v[75:76], s[22:23]
	v_fma_f64 v[12:13], v[16:17], s[4:5], -v[34:35]
	v_fma_f64 v[14:15], v[18:19], s[4:5], v[46:47]
	v_fma_f64 v[58:59], v[16:17], s[6:7], -v[58:59]
	v_fma_f64 v[50:51], v[16:17], s[4:5], v[34:35]
	v_fma_f64 v[56:57], v[18:19], s[4:5], -v[46:47]
	v_mul_f64 v[10:11], v[85:86], s[22:23]
	v_add_f64 v[68:69], v[26:27], v[62:63]
	v_add_f64 v[70:71], v[28:29], v[64:65]
	v_fma_f64 v[16:17], v[40:41], s[16:17], v[8:9]
	v_add_f64 v[26:27], v[12:13], v[24:25]
	v_add_f64 v[28:29], v[14:15], v[32:33]
	v_mul_f64 v[12:13], v[75:76], s[34:35]
	v_mul_f64 v[14:15], v[85:86], s[34:35]
	v_fma_f64 v[8:9], v[40:41], s[16:17], -v[8:9]
	v_add_f64 v[79:80], v[60:61], v[79:80]
	v_add_f64 v[60:61], v[56:57], v[83:84]
	v_fma_f64 v[18:19], v[42:43], s[16:17], -v[10:11]
	v_fma_f64 v[10:11], v[42:43], s[16:17], v[10:11]
	v_add_f64 v[56:57], v[16:17], v[36:37]
	v_mul_f64 v[16:17], v[75:76], s[18:19]
	v_fma_f64 v[24:25], v[42:43], s[6:7], -v[14:15]
	v_add_f64 v[32:33], v[8:9], v[20:21]
	v_fma_f64 v[8:9], v[40:41], s[6:7], -v[12:13]
	v_add_f64 v[77:78], v[58:59], v[77:78]
	v_add_f64 v[58:59], v[50:51], v[81:82]
	;; [unrolled: 1-line block ×3, first 2 shown]
	v_mul_f64 v[38:39], v[85:86], s[18:19]
	v_fma_f64 v[18:19], v[40:41], s[6:7], v[12:13]
	v_add_f64 v[34:35], v[10:11], v[22:23]
	v_fma_f64 v[10:11], v[42:43], s[6:7], v[14:15]
	v_fma_f64 v[12:13], v[40:41], s[4:5], v[16:17]
	v_add_f64 v[36:37], v[24:25], v[95:96]
	v_mul_f64 v[62:63], v[75:76], s[44:45]
	v_add_f64 v[24:25], v[8:9], v[97:98]
	v_fma_f64 v[8:9], v[40:41], s[4:5], -v[16:17]
	v_mul_f64 v[81:82], v[75:76], s[38:39]
	v_mul_f64 v[64:65], v[85:86], s[44:45]
	v_fma_f64 v[14:15], v[42:43], s[4:5], -v[38:39]
	v_add_f64 v[46:47], v[18:19], v[93:94]
	v_add_f64 v[18:19], v[10:11], v[99:100]
	;; [unrolled: 1-line block ×3, first 2 shown]
	v_fma_f64 v[10:11], v[42:43], s[4:5], v[38:39]
	v_fma_f64 v[12:13], v[40:41], s[28:29], v[62:63]
	v_fma_f64 v[62:63], v[40:41], s[28:29], -v[62:63]
	v_mul_f64 v[83:84], v[85:86], s[38:39]
	v_add_f64 v[38:39], v[8:9], v[89:90]
	v_fma_f64 v[8:9], v[40:41], s[24:25], v[81:82]
	v_fma_f64 v[16:17], v[42:43], s[28:29], -v[64:65]
	v_fma_f64 v[64:65], v[42:43], s[28:29], v[64:65]
	v_add_f64 v[22:23], v[14:15], v[101:102]
	v_add_f64 v[14:15], v[12:13], v[103:104]
	;; [unrolled: 1-line block ×3, first 2 shown]
	v_fma_f64 v[77:78], v[42:43], s[24:25], -v[83:84]
	v_mul_f64 v[62:63], v[75:76], s[20:21]
	v_add_f64 v[8:9], v[8:9], v[73:74]
	v_add_f64 v[73:74], v[2:3], -v[6:7]
	v_add_f64 v[30:31], v[10:11], v[91:92]
	v_add_f64 v[10:11], v[64:65], v[79:80]
	v_fma_f64 v[79:80], v[40:41], s[24:25], -v[81:82]
	v_mul_f64 v[64:65], v[85:86], s[20:21]
	v_add_f64 v[75:76], v[0:1], -v[4:5]
	v_add_f64 v[66:67], v[77:78], v[66:67]
	v_fma_f64 v[77:78], v[40:41], s[8:9], v[62:63]
	v_add_f64 v[0:1], v[4:5], v[0:1]
	v_mul_f64 v[4:5], v[73:74], s[30:31]
	v_add_f64 v[2:3], v[6:7], v[2:3]
	v_add_f64 v[68:69], v[79:80], v[68:69]
	v_fma_f64 v[79:80], v[42:43], s[8:9], -v[64:65]
	v_mul_f64 v[6:7], v[75:76], s[30:31]
	v_fma_f64 v[81:82], v[42:43], s[24:25], v[83:84]
	v_fma_f64 v[40:41], v[40:41], s[8:9], -v[62:63]
	v_fma_f64 v[42:43], v[42:43], s[8:9], v[64:65]
	v_add_f64 v[58:59], v[77:78], v[58:59]
	v_mul_f64 v[62:63], v[73:74], s[38:39]
	v_fma_f64 v[64:65], v[0:1], s[28:29], v[4:5]
	v_mul_f64 v[77:78], v[75:76], s[38:39]
	v_add_f64 v[60:61], v[79:80], v[60:61]
	v_fma_f64 v[79:80], v[2:3], s[28:29], -v[6:7]
	v_fma_f64 v[4:5], v[0:1], s[28:29], -v[4:5]
	v_add_f64 v[26:27], v[40:41], v[26:27]
	v_add_f64 v[28:29], v[42:43], v[28:29]
	v_fma_f64 v[6:7], v[2:3], s[28:29], v[6:7]
	v_fma_f64 v[40:41], v[0:1], s[24:25], v[62:63]
	v_add_f64 v[42:43], v[64:65], v[56:57]
	v_fma_f64 v[56:57], v[2:3], s[24:25], -v[77:78]
	v_mul_f64 v[64:65], v[73:74], s[22:23]
	v_add_f64 v[50:51], v[79:80], v[50:51]
	v_mul_f64 v[79:80], v[75:76], s[22:23]
	v_add_f64 v[4:5], v[4:5], v[32:33]
	v_fma_f64 v[32:33], v[0:1], s[24:25], -v[62:63]
	v_add_f64 v[70:71], v[81:82], v[70:71]
	v_add_f64 v[81:82], v[6:7], v[34:35]
	;; [unrolled: 1-line block ×4, first 2 shown]
	v_fma_f64 v[34:35], v[2:3], s[24:25], v[77:78]
	v_fma_f64 v[36:37], v[0:1], s[16:17], v[64:65]
	v_mul_f64 v[56:57], v[73:74], s[42:43]
	v_mul_f64 v[62:63], v[75:76], s[42:43]
	v_fma_f64 v[64:65], v[0:1], s[16:17], -v[64:65]
	v_add_f64 v[24:25], v[32:33], v[24:25]
	v_fma_f64 v[32:33], v[2:3], s[16:17], v[79:80]
	v_fma_f64 v[40:41], v[2:3], s[16:17], -v[79:80]
	v_add_f64 v[77:78], v[34:35], v[18:19]
	v_add_f64 v[18:19], v[36:37], v[20:21]
	v_fma_f64 v[20:21], v[0:1], s[4:5], v[56:57]
	v_add_f64 v[16:17], v[16:17], v[105:106]
	v_fma_f64 v[34:35], v[2:3], s[4:5], -v[62:63]
	v_add_f64 v[36:37], v[64:65], v[38:39]
	v_fma_f64 v[38:39], v[0:1], s[4:5], -v[56:57]
	v_add_f64 v[56:57], v[32:33], v[30:31]
	v_fma_f64 v[30:31], v[2:3], s[4:5], v[62:63]
	v_mul_f64 v[32:33], v[73:74], s[20:21]
	v_add_f64 v[22:23], v[40:41], v[22:23]
	v_mul_f64 v[40:41], v[75:76], s[20:21]
	v_add_f64 v[14:15], v[20:21], v[14:15]
	;; [unrolled: 2-line block ×4, first 2 shown]
	v_fma_f64 v[10:11], v[0:1], s[8:9], v[32:33]
	v_add_f64 v[12:13], v[38:39], v[12:13]
	v_fma_f64 v[30:31], v[2:3], s[8:9], -v[40:41]
	v_fma_f64 v[32:33], v[0:1], s[8:9], -v[32:33]
	v_fma_f64 v[38:39], v[2:3], s[8:9], v[40:41]
	v_fma_f64 v[40:41], v[0:1], s[6:7], v[20:21]
	v_fma_f64 v[0:1], v[0:1], s[6:7], -v[20:21]
	v_fma_f64 v[20:21], v[2:3], s[6:7], -v[34:35]
	v_fma_f64 v[2:3], v[2:3], s[6:7], v[34:35]
	v_add_f64 v[8:9], v[10:11], v[8:9]
	v_add_f64 v[64:65], v[30:31], v[66:67]
	;; [unrolled: 1-line block ×3, first 2 shown]
	s_movk_i32 s33, 0x68
	v_add_f64 v[31:32], v[40:41], v[58:59]
	v_add_f64 v[0:1], v[0:1], v[26:27]
	v_mad_u32_u24 v30, v72, s33, 0
	s_movk_i32 s33, 0xffa0
	ds_write2_b64 v30, v[48:49], v[42:43] offset1:1
	ds_write2_b64 v30, v[6:7], v[18:19] offset0:2 offset1:3
	ds_write2_b64 v30, v[14:15], v[8:9] offset0:4 offset1:5
	;; [unrolled: 1-line block ×5, first 2 shown]
	ds_write_b64 v30, v[4:5] offset:96
	v_mad_i32_i24 v31, v72, s33, v30
	s_movk_i32 s33, 0x4f
	v_add_f64 v[58:59], v[20:21], v[60:61]
	v_add_f64 v[60:61], v[2:3], v[28:29]
	v_mul_lo_u16_sdwa v12, v72, s33 dst_sel:DWORD dst_unused:UNUSED_PAD src0_sel:BYTE_0 src1_sel:DWORD
	v_add_f64 v[66:67], v[38:39], v[70:71]
	v_lshrrev_b16_e32 v38, 10, v12
	v_mul_lo_u16_e32 v12, 13, v38
	v_sub_u16_e32 v37, v72, v12
	v_mov_b32_e32 v12, 12
	v_add_u32_e32 v32, 0x800, v31
	v_add_u32_e32 v33, 0x1400, v31
	;; [unrolled: 1-line block ×5, first 2 shown]
	v_mul_u32_u24_sdwa v12, v37, v12 dst_sel:DWORD dst_unused:UNUSED_PAD src0_sel:BYTE_0 src1_sel:DWORD
	s_waitcnt lgkmcnt(0)
	s_barrier
	ds_read2_b64 v[0:3], v31 offset1:169
	ds_read2_b64 v[4:7], v32 offset0:82 offset1:251
	ds_read2_b64 v[8:11], v33 offset0:36 offset1:205
	;; [unrolled: 1-line block ×5, first 2 shown]
	ds_read_b64 v[97:98], v31 offset:16224
	s_waitcnt lgkmcnt(0)
	s_barrier
	ds_write2_b64 v30, v[44:45], v[50:51] offset1:1
	ds_write2_b64 v30, v[46:47], v[22:23] offset0:2 offset1:3
	ds_write2_b64 v30, v[16:17], v[64:65] offset0:4 offset1:5
	;; [unrolled: 1-line block ×5, first 2 shown]
	ds_write_b64 v30, v[81:82] offset:96
	v_lshlrev_b32_e32 v16, 4, v12
	s_waitcnt lgkmcnt(0)
	s_barrier
	global_load_dwordx4 v[12:15], v16, s[12:13]
	global_load_dwordx4 v[22:25], v16, s[12:13] offset:16
	global_load_dwordx4 v[43:46], v16, s[12:13] offset:32
	;; [unrolled: 1-line block ×10, first 2 shown]
	ds_read2_b64 v[85:88], v31 offset1:169
	global_load_dwordx4 v[89:92], v16, s[12:13] offset:160
	ds_read2_b64 v[93:96], v32 offset0:82 offset1:251
	s_waitcnt vmcnt(11) lgkmcnt(1)
	v_mul_f64 v[16:17], v[87:88], v[14:15]
	v_mul_f64 v[14:15], v[2:3], v[14:15]
	s_waitcnt vmcnt(10) lgkmcnt(0)
	v_mul_f64 v[99:100], v[93:94], v[24:25]
	v_mul_f64 v[24:25], v[4:5], v[24:25]
	v_fma_f64 v[101:102], v[2:3], v[12:13], v[16:17]
	v_fma_f64 v[87:88], v[87:88], v[12:13], -v[14:15]
	v_fma_f64 v[99:100], v[4:5], v[22:23], v[99:100]
	v_fma_f64 v[93:94], v[93:94], v[22:23], -v[24:25]
	s_waitcnt vmcnt(9)
	v_mul_f64 v[2:3], v[95:96], v[45:46]
	v_mul_f64 v[4:5], v[6:7], v[45:46]
	ds_read2_b64 v[14:17], v33 offset0:36 offset1:205
	s_waitcnt vmcnt(8)
	v_mul_f64 v[45:46], v[8:9], v[49:50]
	v_add_f64 v[12:13], v[0:1], v[101:102]
	v_add_f64 v[22:23], v[85:86], v[87:88]
	s_waitcnt lgkmcnt(0)
	v_mul_f64 v[24:25], v[14:15], v[49:50]
	v_fma_f64 v[49:50], v[6:7], v[43:44], v[2:3]
	v_fma_f64 v[95:96], v[95:96], v[43:44], -v[4:5]
	s_waitcnt vmcnt(7)
	v_mul_f64 v[43:44], v[10:11], v[58:59]
	ds_read2_b64 v[2:5], v34 offset0:54 offset1:223
	v_add_f64 v[6:7], v[12:13], v[99:100]
	v_add_f64 v[12:13], v[22:23], v[93:94]
	v_fma_f64 v[22:23], v[8:9], v[47:48], v[24:25]
	v_fma_f64 v[24:25], v[14:15], v[47:48], -v[45:46]
	v_mul_f64 v[8:9], v[16:17], v[58:59]
	s_waitcnt vmcnt(6) lgkmcnt(0)
	v_mul_f64 v[47:48], v[2:3], v[62:63]
	v_mul_f64 v[58:59], v[18:19], v[62:63]
	v_add_f64 v[6:7], v[6:7], v[49:50]
	v_add_f64 v[12:13], v[12:13], v[95:96]
	v_fma_f64 v[16:17], v[16:17], v[56:57], -v[43:44]
	ds_read2_b64 v[43:46], v35 offset0:72 offset1:241
	s_waitcnt vmcnt(1)
	v_mul_f64 v[62:63], v[97:98], v[83:84]
	v_fma_f64 v[14:15], v[10:11], v[56:57], v[8:9]
	v_fma_f64 v[8:9], v[2:3], v[60:61], -v[58:59]
	v_add_f64 v[10:11], v[6:7], v[22:23]
	v_add_f64 v[12:13], v[12:13], v[24:25]
	v_fma_f64 v[6:7], v[18:19], v[60:61], v[47:48]
	v_mul_f64 v[2:3], v[4:5], v[66:67]
	v_mul_f64 v[18:19], v[20:21], v[66:67]
	s_waitcnt lgkmcnt(0)
	v_mul_f64 v[58:59], v[43:44], v[70:71]
	v_mul_f64 v[60:61], v[26:27], v[70:71]
	v_add_f64 v[47:48], v[10:11], v[14:15]
	v_add_f64 v[56:57], v[12:13], v[16:17]
	v_fma_f64 v[10:11], v[20:21], v[64:65], v[2:3]
	v_fma_f64 v[12:13], v[4:5], v[64:65], -v[18:19]
	v_fma_f64 v[18:19], v[26:27], v[68:69], v[58:59]
	v_fma_f64 v[20:21], v[43:44], v[68:69], -v[60:61]
	v_mul_f64 v[26:27], v[45:46], v[75:76]
	v_add_f64 v[47:48], v[47:48], v[6:7]
	v_add_f64 v[56:57], v[56:57], v[8:9]
	v_mul_f64 v[43:44], v[28:29], v[75:76]
	ds_read2_b64 v[2:5], v36 offset0:26 offset1:195
	v_mul_f64 v[64:65], v[39:40], v[79:80]
	ds_read_b64 v[58:59], v31 offset:16224
	s_waitcnt lgkmcnt(0)
	v_fma_f64 v[26:27], v[28:29], v[73:74], v[26:27]
	v_add_f64 v[47:48], v[47:48], v[10:11]
	v_add_f64 v[56:57], v[56:57], v[12:13]
	v_mul_f64 v[60:61], v[2:3], v[79:80]
	v_fma_f64 v[28:29], v[45:46], v[73:74], -v[43:44]
	s_waitcnt vmcnt(0)
	s_barrier
	v_add_f64 v[43:44], v[47:48], v[18:19]
	v_add_f64 v[45:46], v[56:57], v[20:21]
	v_mul_f64 v[47:48], v[58:59], v[83:84]
	v_fma_f64 v[39:40], v[39:40], v[77:78], v[60:61]
	v_fma_f64 v[56:57], v[58:59], v[81:82], -v[62:63]
	v_fma_f64 v[58:59], v[2:3], v[77:78], -v[64:65]
	v_mul_f64 v[2:3], v[4:5], v[91:92]
	v_mul_f64 v[60:61], v[41:42], v[91:92]
	v_add_f64 v[43:44], v[43:44], v[26:27]
	v_add_f64 v[45:46], v[45:46], v[28:29]
	v_fma_f64 v[47:48], v[97:98], v[81:82], v[47:48]
	v_add_f64 v[62:63], v[87:88], -v[56:57]
	v_add_f64 v[64:65], v[87:88], v[56:57]
	v_fma_f64 v[41:42], v[41:42], v[89:90], v[2:3]
	v_fma_f64 v[60:61], v[4:5], v[89:90], -v[60:61]
	v_add_f64 v[2:3], v[43:44], v[39:40]
	v_add_f64 v[4:5], v[45:46], v[58:59]
	;; [unrolled: 1-line block ×3, first 2 shown]
	v_add_f64 v[45:46], v[101:102], -v[47:48]
	v_mul_f64 v[66:67], v[62:63], s[26:27]
	v_mul_f64 v[68:69], v[64:65], s[24:25]
	;; [unrolled: 1-line block ×4, first 2 shown]
	v_add_f64 v[2:3], v[2:3], v[41:42]
	v_add_f64 v[4:5], v[4:5], v[60:61]
	v_mul_f64 v[89:90], v[62:63], s[20:21]
	v_mul_f64 v[91:92], v[64:65], s[8:9]
	v_mul_f64 v[97:98], v[62:63], s[22:23]
	v_mul_f64 v[101:102], v[64:65], s[16:17]
	v_add_f64 v[111:112], v[93:94], -v[60:61]
	v_add_f64 v[60:61], v[93:94], v[60:61]
	v_add_f64 v[2:3], v[2:3], v[47:48]
	;; [unrolled: 1-line block ×3, first 2 shown]
	v_mul_f64 v[47:48], v[62:63], s[18:19]
	v_mul_f64 v[56:57], v[64:65], s[4:5]
	;; [unrolled: 1-line block ×4, first 2 shown]
	v_fma_f64 v[70:71], v[43:44], s[24:25], v[66:67]
	v_fma_f64 v[73:74], v[45:46], s[38:39], v[68:69]
	v_fma_f64 v[66:67], v[43:44], s[24:25], -v[66:67]
	v_fma_f64 v[68:69], v[45:46], s[26:27], v[68:69]
	v_fma_f64 v[79:80], v[43:44], s[4:5], v[47:48]
	v_fma_f64 v[81:82], v[45:46], s[42:43], v[56:57]
	v_fma_f64 v[47:48], v[43:44], s[4:5], -v[47:48]
	v_fma_f64 v[56:57], v[45:46], s[18:19], v[56:57]
	;; [unrolled: 4-line block ×5, first 2 shown]
	v_add_f64 v[101:102], v[99:100], v[41:42]
	v_add_f64 v[41:42], v[99:100], -v[41:42]
	v_mul_f64 v[99:100], v[111:112], s[18:19]
	v_mul_f64 v[113:114], v[60:61], s[4:5]
	v_fma_f64 v[115:116], v[43:44], s[28:29], v[62:63]
	v_fma_f64 v[117:118], v[45:46], s[44:45], v[64:65]
	v_fma_f64 v[43:44], v[43:44], s[28:29], -v[62:63]
	v_fma_f64 v[45:46], v[45:46], s[30:31], v[64:65]
	v_add_f64 v[70:71], v[0:1], v[70:71]
	v_add_f64 v[73:74], v[85:86], v[73:74]
	;; [unrolled: 1-line block ×20, first 2 shown]
	v_fma_f64 v[93:94], v[101:102], s[4:5], v[99:100]
	v_fma_f64 v[97:98], v[41:42], s[42:43], v[113:114]
	v_add_f64 v[115:116], v[0:1], v[115:116]
	v_add_f64 v[117:118], v[85:86], v[117:118]
	;; [unrolled: 1-line block ×4, first 2 shown]
	v_mul_f64 v[45:46], v[111:112], s[20:21]
	v_mul_f64 v[85:86], v[60:61], s[8:9]
	v_add_f64 v[70:71], v[93:94], v[70:71]
	v_add_f64 v[73:74], v[97:98], v[73:74]
	v_fma_f64 v[93:94], v[101:102], s[4:5], -v[99:100]
	v_fma_f64 v[97:98], v[41:42], s[18:19], v[113:114]
	v_mul_f64 v[99:100], v[111:112], s[30:31]
	v_mul_f64 v[113:114], v[60:61], s[28:29]
	v_fma_f64 v[119:120], v[101:102], s[8:9], v[45:46]
	v_fma_f64 v[121:122], v[41:42], s[40:41], v[85:86]
	v_fma_f64 v[45:46], v[101:102], s[8:9], -v[45:46]
	v_fma_f64 v[85:86], v[41:42], s[20:21], v[85:86]
	v_add_f64 v[66:67], v[93:94], v[66:67]
	v_add_f64 v[68:69], v[97:98], v[68:69]
	v_fma_f64 v[93:94], v[101:102], s[28:29], v[99:100]
	v_fma_f64 v[97:98], v[41:42], s[44:45], v[113:114]
	v_add_f64 v[79:80], v[119:120], v[79:80]
	v_add_f64 v[81:82], v[121:122], v[81:82]
	v_add_f64 v[45:46], v[45:46], v[47:48]
	v_add_f64 v[47:48], v[85:86], v[56:57]
	v_mul_f64 v[56:57], v[111:112], s[36:37]
	v_mul_f64 v[85:86], v[60:61], s[16:17]
	v_add_f64 v[83:84], v[93:94], v[83:84]
	v_add_f64 v[87:88], v[97:98], v[87:88]
	v_mul_f64 v[93:94], v[111:112], s[34:35]
	v_mul_f64 v[97:98], v[60:61], s[6:7]
	v_fma_f64 v[99:100], v[101:102], s[28:29], -v[99:100]
	v_fma_f64 v[113:114], v[41:42], s[30:31], v[113:114]
	v_fma_f64 v[119:120], v[101:102], s[16:17], v[56:57]
	;; [unrolled: 1-line block ×3, first 2 shown]
	v_fma_f64 v[56:57], v[101:102], s[16:17], -v[56:57]
	v_fma_f64 v[85:86], v[41:42], s[36:37], v[85:86]
	v_fma_f64 v[123:124], v[101:102], s[6:7], v[93:94]
	;; [unrolled: 1-line block ×3, first 2 shown]
	v_add_f64 v[75:76], v[99:100], v[75:76]
	v_mul_f64 v[60:61], v[60:61], s[24:25]
	v_add_f64 v[99:100], v[119:120], v[103:104]
	v_add_f64 v[103:104], v[121:122], v[105:106]
	v_add_f64 v[105:106], v[95:96], -v[58:59]
	v_add_f64 v[58:59], v[95:96], v[58:59]
	v_add_f64 v[56:57], v[56:57], v[89:90]
	;; [unrolled: 1-line block ×5, first 2 shown]
	v_mul_f64 v[95:96], v[111:112], s[38:39]
	v_fma_f64 v[93:94], v[101:102], s[6:7], -v[93:94]
	v_fma_f64 v[97:98], v[41:42], s[34:35], v[97:98]
	v_add_f64 v[107:108], v[49:50], v[39:40]
	v_add_f64 v[39:40], v[49:50], -v[39:40]
	v_mul_f64 v[49:50], v[105:106], s[14:15]
	v_mul_f64 v[109:110], v[58:59], s[6:7]
	v_add_f64 v[77:78], v[113:114], v[77:78]
	v_fma_f64 v[111:112], v[101:102], s[24:25], v[95:96]
	v_fma_f64 v[113:114], v[41:42], s[26:27], v[60:61]
	v_fma_f64 v[95:96], v[101:102], s[24:25], -v[95:96]
	v_fma_f64 v[41:42], v[41:42], s[38:39], v[60:61]
	v_add_f64 v[60:61], v[93:94], v[62:63]
	v_add_f64 v[62:63], v[97:98], v[64:65]
	v_fma_f64 v[64:65], v[107:108], s[6:7], v[49:50]
	v_fma_f64 v[93:94], v[39:40], s[34:35], v[109:110]
	v_fma_f64 v[49:50], v[107:108], s[6:7], -v[49:50]
	v_add_f64 v[97:98], v[111:112], v[115:116]
	v_add_f64 v[0:1], v[95:96], v[0:1]
	;; [unrolled: 1-line block ×3, first 2 shown]
	v_mul_f64 v[43:44], v[105:106], s[30:31]
	v_mul_f64 v[95:96], v[58:59], s[28:29]
	v_add_f64 v[64:65], v[64:65], v[70:71]
	v_add_f64 v[70:71], v[93:94], v[73:74]
	v_fma_f64 v[73:74], v[39:40], s[14:15], v[109:110]
	v_mul_f64 v[93:94], v[105:106], s[40:41]
	v_mul_f64 v[109:110], v[58:59], s[8:9]
	v_add_f64 v[101:102], v[113:114], v[117:118]
	v_fma_f64 v[111:112], v[107:108], s[28:29], v[43:44]
	v_fma_f64 v[113:114], v[39:40], s[44:45], v[95:96]
	v_fma_f64 v[43:44], v[107:108], s[28:29], -v[43:44]
	v_fma_f64 v[95:96], v[39:40], s[30:31], v[95:96]
	v_add_f64 v[49:50], v[49:50], v[66:67]
	v_add_f64 v[66:67], v[73:74], v[68:69]
	v_fma_f64 v[68:69], v[107:108], s[8:9], v[93:94]
	v_fma_f64 v[73:74], v[39:40], s[20:21], v[109:110]
	v_add_f64 v[79:80], v[111:112], v[79:80]
	v_add_f64 v[81:82], v[113:114], v[81:82]
	;; [unrolled: 1-line block ×4, first 2 shown]
	v_mul_f64 v[47:48], v[105:106], s[38:39]
	v_mul_f64 v[95:96], v[58:59], s[24:25]
	v_add_f64 v[68:69], v[68:69], v[83:84]
	v_add_f64 v[73:74], v[73:74], v[87:88]
	v_mul_f64 v[83:84], v[105:106], s[18:19]
	v_mul_f64 v[87:88], v[58:59], s[4:5]
	v_fma_f64 v[93:94], v[107:108], s[8:9], -v[93:94]
	v_fma_f64 v[109:110], v[39:40], s[40:41], v[109:110]
	v_fma_f64 v[111:112], v[107:108], s[24:25], v[47:48]
	;; [unrolled: 1-line block ×3, first 2 shown]
	v_fma_f64 v[47:48], v[107:108], s[24:25], -v[47:48]
	v_fma_f64 v[95:96], v[39:40], s[38:39], v[95:96]
	v_fma_f64 v[115:116], v[107:108], s[4:5], v[83:84]
	;; [unrolled: 1-line block ×3, first 2 shown]
	v_add_f64 v[75:76], v[93:94], v[75:76]
	v_mul_f64 v[58:59], v[58:59], s[16:17]
	v_add_f64 v[93:94], v[111:112], v[99:100]
	v_add_f64 v[99:100], v[113:114], v[103:104]
	;; [unrolled: 1-line block ×6, first 2 shown]
	v_add_f64 v[91:92], v[24:25], -v[28:29]
	v_add_f64 v[24:25], v[24:25], v[28:29]
	v_mul_f64 v[28:29], v[105:106], s[22:23]
	v_fma_f64 v[83:84], v[107:108], s[4:5], -v[83:84]
	v_fma_f64 v[87:88], v[39:40], s[18:19], v[87:88]
	v_add_f64 v[95:96], v[22:23], v[26:27]
	v_add_f64 v[22:23], v[22:23], -v[26:27]
	v_add_f64 v[77:78], v[109:110], v[77:78]
	v_mul_f64 v[26:27], v[91:92], s[20:21]
	v_mul_f64 v[103:104], v[24:25], s[8:9]
	v_fma_f64 v[105:106], v[107:108], s[16:17], v[28:29]
	v_fma_f64 v[109:110], v[39:40], s[36:37], v[58:59]
	v_fma_f64 v[28:29], v[107:108], s[16:17], -v[28:29]
	v_fma_f64 v[39:40], v[39:40], s[22:23], v[58:59]
	v_add_f64 v[58:59], v[83:84], v[60:61]
	v_add_f64 v[60:61], v[87:88], v[62:63]
	v_fma_f64 v[62:63], v[95:96], s[8:9], v[26:27]
	v_fma_f64 v[83:84], v[22:23], s[40:41], v[103:104]
	v_add_f64 v[87:88], v[105:106], v[97:98]
	v_add_f64 v[97:98], v[109:110], v[101:102]
	;; [unrolled: 1-line block ×4, first 2 shown]
	v_mul_f64 v[39:40], v[91:92], s[36:37]
	v_mul_f64 v[41:42], v[24:25], s[16:17]
	v_add_f64 v[62:63], v[62:63], v[64:65]
	v_add_f64 v[64:65], v[83:84], v[70:71]
	v_fma_f64 v[26:27], v[95:96], s[8:9], -v[26:27]
	v_fma_f64 v[70:71], v[22:23], s[20:21], v[103:104]
	v_mul_f64 v[83:84], v[91:92], s[38:39]
	v_mul_f64 v[101:102], v[24:25], s[24:25]
	v_fma_f64 v[103:104], v[95:96], s[16:17], v[39:40]
	v_fma_f64 v[105:106], v[22:23], s[22:23], v[41:42]
	v_fma_f64 v[39:40], v[95:96], s[16:17], -v[39:40]
	v_fma_f64 v[41:42], v[22:23], s[36:37], v[41:42]
	v_add_f64 v[26:27], v[26:27], v[49:50]
	v_add_f64 v[49:50], v[70:71], v[66:67]
	v_fma_f64 v[66:67], v[95:96], s[24:25], v[83:84]
	v_fma_f64 v[70:71], v[22:23], s[26:27], v[101:102]
	v_add_f64 v[79:80], v[103:104], v[79:80]
	v_add_f64 v[81:82], v[105:106], v[81:82]
	;; [unrolled: 1-line block ×4, first 2 shown]
	v_mul_f64 v[43:44], v[91:92], s[14:15]
	v_mul_f64 v[45:46], v[24:25], s[6:7]
	v_add_f64 v[66:67], v[66:67], v[68:69]
	v_add_f64 v[68:69], v[70:71], v[73:74]
	v_fma_f64 v[70:71], v[95:96], s[24:25], -v[83:84]
	v_fma_f64 v[73:74], v[22:23], s[38:39], v[101:102]
	v_mul_f64 v[83:84], v[91:92], s[44:45]
	v_mul_f64 v[101:102], v[24:25], s[28:29]
	v_fma_f64 v[103:104], v[95:96], s[6:7], v[43:44]
	v_fma_f64 v[105:106], v[22:23], s[34:35], v[45:46]
	v_fma_f64 v[43:44], v[95:96], s[6:7], -v[43:44]
	v_fma_f64 v[45:46], v[22:23], s[14:15], v[45:46]
	v_add_f64 v[70:71], v[70:71], v[75:76]
	v_add_f64 v[73:74], v[73:74], v[77:78]
	v_fma_f64 v[75:76], v[95:96], s[28:29], v[83:84]
	v_fma_f64 v[77:78], v[22:23], s[30:31], v[101:102]
	v_mul_f64 v[24:25], v[24:25], s[4:5]
	v_add_f64 v[99:100], v[105:106], v[99:100]
	v_add_f64 v[43:44], v[43:44], v[47:48]
	;; [unrolled: 1-line block ×3, first 2 shown]
	v_mul_f64 v[47:48], v[91:92], s[42:43]
	v_add_f64 v[91:92], v[14:15], v[18:19]
	v_add_f64 v[56:57], v[75:76], v[85:86]
	;; [unrolled: 1-line block ×3, first 2 shown]
	v_add_f64 v[77:78], v[16:17], -v[20:21]
	v_add_f64 v[16:17], v[16:17], v[20:21]
	v_fma_f64 v[20:21], v[95:96], s[28:29], -v[83:84]
	v_fma_f64 v[83:84], v[22:23], s[44:45], v[101:102]
	v_fma_f64 v[85:86], v[95:96], s[4:5], v[47:48]
	v_add_f64 v[14:15], v[14:15], -v[18:19]
	v_fma_f64 v[47:48], v[95:96], s[4:5], -v[47:48]
	v_fma_f64 v[89:90], v[22:23], s[18:19], v[24:25]
	v_mul_f64 v[18:19], v[77:78], s[22:23]
	v_mul_f64 v[101:102], v[16:17], s[16:17]
	v_fma_f64 v[22:23], v[22:23], s[42:43], v[24:25]
	v_add_f64 v[20:21], v[20:21], v[58:59]
	v_add_f64 v[24:25], v[83:84], v[60:61]
	;; [unrolled: 1-line block ×4, first 2 shown]
	v_mul_f64 v[47:48], v[16:17], s[6:7]
	v_fma_f64 v[83:84], v[91:92], s[16:17], v[18:19]
	v_fma_f64 v[85:86], v[14:15], s[36:37], v[101:102]
	v_add_f64 v[22:23], v[22:23], v[28:29]
	v_mul_f64 v[28:29], v[77:78], s[34:35]
	v_fma_f64 v[18:19], v[91:92], s[16:17], -v[18:19]
	v_fma_f64 v[87:88], v[14:15], s[22:23], v[101:102]
	v_add_f64 v[60:61], v[89:90], v[97:98]
	v_fma_f64 v[95:96], v[14:15], s[14:15], v[47:48]
	v_add_f64 v[62:63], v[83:84], v[62:63]
	v_add_f64 v[64:65], v[85:86], v[64:65]
	v_mul_f64 v[83:84], v[77:78], s[18:19]
	v_mul_f64 v[85:86], v[16:17], s[4:5]
	v_fma_f64 v[89:90], v[91:92], s[6:7], v[28:29]
	v_add_f64 v[18:19], v[18:19], v[26:27]
	v_add_f64 v[26:27], v[87:88], v[49:50]
	v_fma_f64 v[28:29], v[91:92], s[6:7], -v[28:29]
	v_fma_f64 v[47:48], v[14:15], s[34:35], v[47:48]
	v_add_f64 v[81:82], v[95:96], v[81:82]
	v_fma_f64 v[49:50], v[91:92], s[4:5], v[83:84]
	v_fma_f64 v[87:88], v[14:15], s[42:43], v[85:86]
	v_mul_f64 v[95:96], v[16:17], s[28:29]
	v_add_f64 v[79:80], v[89:90], v[79:80]
	v_mul_f64 v[89:90], v[77:78], s[44:45]
	v_add_f64 v[28:29], v[28:29], v[39:40]
	v_add_f64 v[39:40], v[47:48], v[41:42]
	;; [unrolled: 1-line block ×5, first 2 shown]
	v_fma_f64 v[49:50], v[91:92], s[4:5], -v[83:84]
	v_fma_f64 v[66:67], v[14:15], s[18:19], v[85:86]
	v_fma_f64 v[83:84], v[14:15], s[30:31], v[95:96]
	v_mul_f64 v[85:86], v[77:78], s[38:39]
	v_mul_f64 v[87:88], v[16:17], s[24:25]
	;; [unrolled: 1-line block ×4, first 2 shown]
	v_fma_f64 v[68:69], v[91:92], s[28:29], v[89:90]
	v_add_f64 v[49:50], v[49:50], v[70:71]
	v_add_f64 v[66:67], v[66:67], v[73:74]
	v_add_f64 v[70:71], v[83:84], v[99:100]
	v_fma_f64 v[73:74], v[91:92], s[24:25], v[85:86]
	v_fma_f64 v[83:84], v[14:15], s[26:27], v[87:88]
	v_fma_f64 v[85:86], v[91:92], s[24:25], -v[85:86]
	v_fma_f64 v[87:88], v[14:15], s[38:39], v[87:88]
	v_fma_f64 v[89:90], v[91:92], s[28:29], -v[89:90]
	v_fma_f64 v[95:96], v[14:15], s[44:45], v[95:96]
	v_add_f64 v[68:69], v[68:69], v[93:94]
	v_add_f64 v[56:57], v[73:74], v[56:57]
	;; [unrolled: 1-line block ×3, first 2 shown]
	v_add_f64 v[75:76], v[8:9], -v[12:13]
	v_add_f64 v[8:9], v[8:9], v[12:13]
	v_add_f64 v[12:13], v[85:86], v[20:21]
	;; [unrolled: 1-line block ×3, first 2 shown]
	v_fma_f64 v[24:25], v[91:92], s[8:9], v[77:78]
	v_fma_f64 v[83:84], v[14:15], s[40:41], v[16:17]
	v_add_f64 v[85:86], v[6:7], v[10:11]
	v_add_f64 v[6:7], v[6:7], -v[10:11]
	v_mul_f64 v[10:11], v[75:76], s[30:31]
	v_mul_f64 v[87:88], v[8:9], s[28:29]
	v_fma_f64 v[77:78], v[91:92], s[8:9], -v[77:78]
	v_fma_f64 v[14:15], v[14:15], s[20:21], v[16:17]
	v_add_f64 v[16:17], v[24:25], v[58:59]
	v_mul_f64 v[58:59], v[75:76], s[38:39]
	v_add_f64 v[43:44], v[89:90], v[43:44]
	v_add_f64 v[24:25], v[83:84], v[60:61]
	v_fma_f64 v[83:84], v[85:86], s[28:29], v[10:11]
	v_fma_f64 v[89:90], v[6:7], s[44:45], v[87:88]
	v_mul_f64 v[60:61], v[8:9], s[24:25]
	v_add_f64 v[0:1], v[77:78], v[0:1]
	v_add_f64 v[14:15], v[14:15], v[22:23]
	v_fma_f64 v[10:11], v[85:86], s[28:29], -v[10:11]
	v_fma_f64 v[22:23], v[6:7], s[30:31], v[87:88]
	v_fma_f64 v[77:78], v[85:86], s[24:25], v[58:59]
	v_add_f64 v[62:63], v[83:84], v[62:63]
	v_add_f64 v[64:65], v[89:90], v[64:65]
	v_mul_f64 v[83:84], v[75:76], s[22:23]
	v_mul_f64 v[89:90], v[8:9], s[16:17]
	v_fma_f64 v[87:88], v[6:7], s[26:27], v[60:61]
	v_add_f64 v[10:11], v[10:11], v[18:19]
	v_add_f64 v[91:92], v[22:23], v[26:27]
	v_add_f64 v[18:19], v[77:78], v[79:80]
	v_fma_f64 v[22:23], v[85:86], s[24:25], -v[58:59]
	v_mul_f64 v[79:80], v[75:76], s[42:43]
	v_fma_f64 v[26:27], v[6:7], s[38:39], v[60:61]
	v_fma_f64 v[58:59], v[85:86], s[16:17], v[83:84]
	;; [unrolled: 1-line block ×3, first 2 shown]
	v_add_f64 v[77:78], v[87:88], v[81:82]
	v_mul_f64 v[81:82], v[8:9], s[4:5]
	v_fma_f64 v[87:88], v[6:7], s[22:23], v[89:90]
	v_add_f64 v[22:23], v[22:23], v[28:29]
	v_fma_f64 v[28:29], v[85:86], s[4:5], v[79:80]
	v_add_f64 v[39:40], v[26:27], v[39:40]
	v_add_f64 v[26:27], v[58:59], v[41:42]
	;; [unrolled: 1-line block ×3, first 2 shown]
	v_fma_f64 v[60:61], v[85:86], s[4:5], -v[79:80]
	v_mul_f64 v[79:80], v[75:76], s[20:21]
	v_fma_f64 v[47:48], v[6:7], s[18:19], v[81:82]
	v_add_f64 v[45:46], v[95:96], v[45:46]
	v_add_f64 v[28:29], v[28:29], v[68:69]
	v_mul_f64 v[68:69], v[75:76], s[34:35]
	v_add_f64 v[58:59], v[87:88], v[66:67]
	v_fma_f64 v[66:67], v[6:7], s[42:43], v[81:82]
	v_mul_f64 v[81:82], v[8:9], s[8:9]
	v_mul_f64 v[8:9], v[8:9], s[6:7]
	v_add_f64 v[43:44], v[60:61], v[43:44]
	v_fma_f64 v[60:61], v[85:86], s[8:9], v[79:80]
	v_add_f64 v[47:48], v[47:48], v[70:71]
	v_fma_f64 v[70:71], v[85:86], s[8:9], -v[79:80]
	v_fma_f64 v[79:80], v[85:86], s[6:7], v[68:69]
	v_fma_f64 v[68:69], v[85:86], s[6:7], -v[68:69]
	v_fma_f64 v[83:84], v[85:86], s[16:17], -v[83:84]
	v_add_f64 v[45:46], v[66:67], v[45:46]
	v_fma_f64 v[66:67], v[6:7], s[40:41], v[81:82]
	v_fma_f64 v[75:76], v[6:7], s[20:21], v[81:82]
	v_fma_f64 v[81:82], v[6:7], s[14:15], v[8:9]
	v_fma_f64 v[6:7], v[6:7], s[34:35], v[8:9]
	v_add_f64 v[8:9], v[60:61], v[56:57]
	v_add_f64 v[16:17], v[79:80], v[16:17]
	;; [unrolled: 1-line block ×8, first 2 shown]
	v_mov_b32_e32 v15, 3
	v_mul_u32_u24_e32 v14, 0x548, v38
	v_lshlrev_b32_sdwa v15, v15, v37 dst_sel:DWORD dst_unused:UNUSED_PAD src0_sel:DWORD src1_sel:BYTE_0
	v_add3_u32 v37, 0, v14, v15
	v_add_f64 v[66:67], v[81:82], v[24:25]
	ds_write2_b64 v37, v[2:3], v[62:63] offset1:13
	ds_write2_b64 v37, v[18:19], v[26:27] offset0:26 offset1:39
	ds_write2_b64 v37, v[28:29], v[8:9] offset0:52 offset1:65
	;; [unrolled: 1-line block ×5, first 2 shown]
	ds_write_b64 v37, v[10:11] offset:1248
	s_waitcnt lgkmcnt(0)
	s_barrier
	ds_read2_b64 v[0:3], v31 offset1:169
	ds_read2_b64 v[8:11], v32 offset0:82 offset1:251
	ds_read2_b64 v[16:19], v33 offset0:36 offset1:205
	;; [unrolled: 1-line block ×5, first 2 shown]
	ds_read_b64 v[28:29], v31 offset:16224
	s_waitcnt lgkmcnt(0)
	s_barrier
	ds_write2_b64 v37, v[4:5], v[64:65] offset1:13
	ds_write2_b64 v37, v[77:78], v[41:42] offset0:26 offset1:39
	ds_write2_b64 v37, v[47:48], v[56:57] offset0:52 offset1:65
	;; [unrolled: 1-line block ×5, first 2 shown]
	ds_write_b64 v37, v[91:92] offset:1248
	s_waitcnt lgkmcnt(0)
	s_barrier
	s_and_saveexec_b64 s[46:47], vcc
	s_cbranch_execz .LBB0_15
; %bb.14:
	v_mul_u32_u24_e32 v4, 12, v72
	v_lshlrev_b32_e32 v4, 4, v4
	global_load_dwordx4 v[31:34], v4, s[12:13] offset:2576
	global_load_dwordx4 v[35:38], v4, s[12:13] offset:2592
	;; [unrolled: 1-line block ×12, first 2 shown]
	v_mul_i32_i24_e32 v4, 0xffffffa0, v72
	v_add_u32_e32 v30, v30, v4
	v_add_u32_e32 v49, 0x2800, v30
	;; [unrolled: 1-line block ×6, first 2 shown]
	ds_read2_b64 v[4:7], v30 offset1:169
	ds_read_b64 v[56:57], v30 offset:16224
	ds_read2_b64 v[62:65], v47 offset0:54 offset1:223
	ds_read2_b64 v[110:113], v48 offset0:36 offset1:205
	;; [unrolled: 1-line block ×5, first 2 shown]
	s_waitcnt vmcnt(11)
	v_mul_f64 v[47:48], v[24:25], v[31:32]
	s_waitcnt vmcnt(10)
	v_mul_f64 v[49:50], v[26:27], v[35:36]
	v_mul_f64 v[26:27], v[26:27], v[37:38]
	s_waitcnt vmcnt(9)
	v_mul_f64 v[66:67], v[18:19], v[39:40]
	;; [unrolled: 3-line block ×3, first 2 shown]
	v_mul_f64 v[68:69], v[20:21], v[43:44]
	v_mul_f64 v[70:71], v[16:17], v[73:74]
	;; [unrolled: 1-line block ×3, first 2 shown]
	s_waitcnt vmcnt(5)
	v_mul_f64 v[104:105], v[10:11], v[81:82]
	s_waitcnt vmcnt(1)
	v_mul_f64 v[133:134], v[2:3], v[100:101]
	;; [unrolled: 2-line block ×3, first 2 shown]
	v_mul_f64 v[128:129], v[8:9], v[85:86]
	v_mul_f64 v[130:131], v[14:15], v[96:97]
	;; [unrolled: 1-line block ×4, first 2 shown]
	s_waitcnt lgkmcnt(4)
	v_fma_f64 v[50:51], v[64:65], v[37:38], v[49:50]
	v_fma_f64 v[60:61], v[64:65], v[35:36], -v[26:27]
	s_waitcnt lgkmcnt(3)
	v_fma_f64 v[64:65], v[112:113], v[41:42], v[66:67]
	v_fma_f64 v[66:67], v[112:113], v[39:40], -v[18:19]
	s_waitcnt lgkmcnt(2)
	v_fma_f64 v[38:39], v[116:117], v[79:80], v[94:95]
	v_fma_f64 v[94:95], v[6:7], v[102:103], v[133:134]
	;; [unrolled: 1-line block ×3, first 2 shown]
	v_mul_f64 v[24:25], v[24:25], v[33:34]
	v_mul_f64 v[20:21], v[20:21], v[45:46]
	;; [unrolled: 1-line block ×5, first 2 shown]
	v_fma_f64 v[58:59], v[62:63], v[33:34], v[47:48]
	v_fma_f64 v[40:41], v[114:115], v[45:46], v[68:69]
	;; [unrolled: 1-line block ×3, first 2 shown]
	v_fma_f64 v[70:71], v[110:111], v[73:74], -v[16:17]
	s_waitcnt lgkmcnt(1)
	v_fma_f64 v[72:73], v[120:121], v[83:84], v[104:105]
	v_fma_f64 v[104:105], v[6:7], v[100:101], -v[137:138]
	v_fma_f64 v[34:35], v[56:57], v[106:107], -v[28:29]
	v_fma_f64 v[88:89], v[118:119], v[87:88], v[128:129]
	s_waitcnt lgkmcnt(0)
	v_fma_f64 v[36:37], v[124:125], v[98:99], v[130:131]
	v_add_f64 v[130:131], v[94:95], -v[2:3]
	v_mul_f64 v[22:23], v[22:23], v[79:80]
	v_mul_f64 v[10:11], v[10:11], v[83:84]
	;; [unrolled: 1-line block ×3, first 2 shown]
	v_fma_f64 v[46:47], v[114:115], v[43:44], -v[20:21]
	v_fma_f64 v[42:43], v[122:123], v[92:93], v[126:127]
	v_fma_f64 v[98:99], v[118:119], v[85:86], -v[8:9]
	v_fma_f64 v[44:45], v[124:125], v[96:97], -v[14:15]
	v_add_f64 v[118:119], v[104:105], -v[34:35]
	v_add_f64 v[126:127], v[88:89], -v[36:37]
	v_add_f64 v[112:113], v[104:105], v[34:35]
	v_mul_f64 v[6:7], v[130:131], s[30:31]
	v_fma_f64 v[48:49], v[116:117], v[77:78], -v[22:23]
	v_fma_f64 v[86:87], v[120:121], v[81:82], -v[10:11]
	;; [unrolled: 1-line block ×3, first 2 shown]
	v_add_f64 v[96:97], v[98:99], -v[44:45]
	v_add_f64 v[114:115], v[94:95], v[2:3]
	v_add_f64 v[122:123], v[72:73], -v[42:43]
	v_add_f64 v[76:77], v[98:99], v[44:45]
	v_mul_f64 v[8:9], v[118:119], s[30:31]
	v_mul_f64 v[10:11], v[126:127], s[38:39]
	v_fma_f64 v[133:134], v[112:113], s[28:29], v[6:7]
	v_add_f64 v[116:117], v[68:69], -v[38:39]
	v_add_f64 v[82:83], v[86:87], -v[56:57]
	v_add_f64 v[84:85], v[88:89], v[36:37]
	v_add_f64 v[74:75], v[86:87], v[56:57]
	v_mul_f64 v[12:13], v[96:97], s[38:39]
	v_mul_f64 v[14:15], v[122:123], s[22:23]
	v_fma_f64 v[141:142], v[114:115], s[28:29], -v[8:9]
	v_fma_f64 v[143:144], v[76:77], s[24:25], v[10:11]
	v_fma_f64 v[6:7], v[112:113], s[28:29], -v[6:7]
	v_add_f64 v[133:134], v[4:5], v[133:134]
	v_fma_f64 v[8:9], v[114:115], s[28:29], v[8:9]
	v_add_f64 v[80:81], v[72:73], v[42:43]
	v_add_f64 v[92:93], v[70:71], -v[48:49]
	v_add_f64 v[78:79], v[70:71], v[48:49]
	v_add_f64 v[128:129], v[64:65], -v[40:41]
	v_mul_f64 v[16:17], v[82:83], s[22:23]
	v_mul_f64 v[18:19], v[116:117], s[42:43]
	v_fma_f64 v[145:146], v[84:85], s[24:25], -v[12:13]
	v_fma_f64 v[147:148], v[74:75], s[16:17], v[14:15]
	v_fma_f64 v[10:11], v[76:77], s[24:25], -v[10:11]
	v_fma_f64 v[12:13], v[84:85], s[24:25], v[12:13]
	v_add_f64 v[141:142], v[0:1], v[141:142]
	v_add_f64 v[6:7], v[4:5], v[6:7]
	;; [unrolled: 1-line block ×4, first 2 shown]
	v_fma_f64 v[62:63], v[62:63], v[31:32], -v[24:25]
	v_add_f64 v[90:91], v[68:69], v[38:39]
	v_add_f64 v[100:101], v[66:67], v[46:47]
	v_add_f64 v[110:111], v[66:67], -v[46:47]
	v_add_f64 v[124:125], v[58:59], -v[50:51]
	v_mul_f64 v[20:21], v[92:93], s[42:43]
	v_mul_f64 v[22:23], v[128:129], s[20:21]
	v_fma_f64 v[149:150], v[80:81], s[16:17], -v[16:17]
	v_fma_f64 v[143:144], v[78:79], s[4:5], v[18:19]
	v_fma_f64 v[14:15], v[74:75], s[16:17], -v[14:15]
	v_fma_f64 v[16:17], v[80:81], s[16:17], v[16:17]
	v_add_f64 v[141:142], v[145:146], v[141:142]
	v_add_f64 v[6:7], v[10:11], v[6:7]
	;; [unrolled: 1-line block ×6, first 2 shown]
	v_add_f64 v[120:121], v[62:63], -v[60:61]
	v_mul_f64 v[24:25], v[110:111], s[20:21]
	v_mul_f64 v[26:27], v[124:125], s[34:35]
	;; [unrolled: 1-line block ×4, first 2 shown]
	v_fma_f64 v[151:152], v[90:91], s[4:5], -v[20:21]
	v_fma_f64 v[12:13], v[100:101], s[8:9], v[22:23]
	v_fma_f64 v[18:19], v[78:79], s[4:5], -v[18:19]
	v_fma_f64 v[20:21], v[90:91], s[4:5], v[20:21]
	v_add_f64 v[141:142], v[149:150], v[141:142]
	v_add_f64 v[6:7], v[14:15], v[6:7]
	;; [unrolled: 1-line block ×5, first 2 shown]
	v_mul_f64 v[28:29], v[120:121], s[34:35]
	v_mul_f64 v[32:33], v[126:127], s[34:35]
	;; [unrolled: 1-line block ×3, first 2 shown]
	v_fma_f64 v[133:134], v[106:107], s[8:9], -v[24:25]
	v_fma_f64 v[14:15], v[102:103], s[6:7], v[26:27]
	v_fma_f64 v[16:17], v[100:101], s[8:9], -v[22:23]
	v_fma_f64 v[22:23], v[106:107], s[8:9], v[24:25]
	v_fma_f64 v[24:25], v[112:113], s[16:17], v[30:31]
	v_add_f64 v[141:142], v[151:152], v[141:142]
	v_add_f64 v[6:7], v[18:19], v[6:7]
	;; [unrolled: 1-line block ×4, first 2 shown]
	v_fma_f64 v[20:21], v[114:115], s[16:17], -v[137:138]
	v_mul_f64 v[135:136], v[122:123], s[18:19]
	v_fma_f64 v[18:19], v[108:109], s[6:7], -v[28:29]
	v_fma_f64 v[143:144], v[76:77], s[6:7], v[32:33]
	v_add_f64 v[24:25], v[4:5], v[24:25]
	v_add_f64 v[133:134], v[133:134], v[141:142]
	v_add_f64 v[16:17], v[16:17], v[6:7]
	v_add_f64 v[8:9], v[14:15], v[10:11]
	v_add_f64 v[10:11], v[22:23], v[12:13]
	v_fma_f64 v[12:13], v[102:103], s[6:7], -v[26:27]
	v_add_f64 v[14:15], v[0:1], v[20:21]
	v_fma_f64 v[20:21], v[84:85], s[6:7], -v[139:140]
	v_mul_f64 v[22:23], v[82:83], s[18:19]
	v_fma_f64 v[26:27], v[108:109], s[6:7], v[28:29]
	v_add_f64 v[24:25], v[143:144], v[24:25]
	v_fma_f64 v[28:29], v[74:75], s[4:5], v[135:136]
	v_add_f64 v[6:7], v[18:19], v[133:134]
	v_mul_f64 v[18:19], v[116:117], s[44:45]
	v_add_f64 v[12:13], v[12:13], v[16:17]
	v_add_f64 v[14:15], v[20:21], v[14:15]
	v_fma_f64 v[16:17], v[80:81], s[4:5], -v[22:23]
	v_mul_f64 v[20:21], v[92:93], s[44:45]
	v_add_f64 v[10:11], v[26:27], v[10:11]
	v_add_f64 v[24:25], v[28:29], v[24:25]
	v_fma_f64 v[26:27], v[112:113], s[16:17], -v[30:31]
	v_fma_f64 v[28:29], v[78:79], s[28:29], v[18:19]
	v_fma_f64 v[30:31], v[114:115], s[16:17], v[137:138]
	v_mul_f64 v[133:134], v[128:129], s[38:39]
	v_add_f64 v[14:15], v[16:17], v[14:15]
	v_fma_f64 v[16:17], v[90:91], s[28:29], -v[20:21]
	v_mul_f64 v[137:138], v[110:111], s[38:39]
	v_fma_f64 v[32:33], v[76:77], s[6:7], -v[32:33]
	v_add_f64 v[26:27], v[4:5], v[26:27]
	v_fma_f64 v[139:140], v[84:85], s[6:7], v[139:140]
	v_add_f64 v[30:31], v[0:1], v[30:31]
	v_add_f64 v[24:25], v[28:29], v[24:25]
	v_fma_f64 v[28:29], v[100:101], s[24:25], v[133:134]
	v_add_f64 v[14:15], v[16:17], v[14:15]
	v_fma_f64 v[16:17], v[106:107], s[24:25], -v[137:138]
	v_mul_f64 v[141:142], v[124:125], s[20:21]
	v_add_f64 v[26:27], v[32:33], v[26:27]
	v_fma_f64 v[32:33], v[74:75], s[4:5], -v[135:136]
	v_add_f64 v[30:31], v[139:140], v[30:31]
	v_fma_f64 v[22:23], v[80:81], s[4:5], v[22:23]
	v_add_f64 v[24:25], v[28:29], v[24:25]
	v_mul_f64 v[28:29], v[130:131], s[20:21]
	v_add_f64 v[14:15], v[16:17], v[14:15]
	v_fma_f64 v[16:17], v[102:103], s[8:9], v[141:142]
	v_mul_f64 v[135:136], v[120:121], s[20:21]
	v_add_f64 v[26:27], v[32:33], v[26:27]
	v_fma_f64 v[18:19], v[78:79], s[28:29], -v[18:19]
	v_add_f64 v[22:23], v[22:23], v[30:31]
	v_fma_f64 v[20:21], v[90:91], s[28:29], v[20:21]
	v_fma_f64 v[30:31], v[112:113], s[8:9], v[28:29]
	v_mul_f64 v[32:33], v[126:127], s[36:37]
	v_add_f64 v[16:17], v[16:17], v[24:25]
	v_mul_f64 v[24:25], v[118:119], s[20:21]
	v_fma_f64 v[139:140], v[108:109], s[8:9], -v[135:136]
	v_add_f64 v[18:19], v[18:19], v[26:27]
	v_fma_f64 v[26:27], v[100:101], s[24:25], -v[133:134]
	v_add_f64 v[20:21], v[20:21], v[22:23]
	v_add_f64 v[22:23], v[4:5], v[30:31]
	v_fma_f64 v[30:31], v[76:77], s[16:17], v[32:33]
	v_mul_f64 v[133:134], v[122:123], s[38:39]
	v_fma_f64 v[143:144], v[114:115], s[8:9], -v[24:25]
	v_mul_f64 v[145:146], v[96:97], s[36:37]
	v_fma_f64 v[137:138], v[106:107], s[24:25], v[137:138]
	v_add_f64 v[14:15], v[139:140], v[14:15]
	v_add_f64 v[18:19], v[26:27], v[18:19]
	v_fma_f64 v[26:27], v[102:103], s[8:9], -v[141:142]
	v_add_f64 v[22:23], v[30:31], v[22:23]
	v_fma_f64 v[30:31], v[74:75], s[24:25], v[133:134]
	v_add_f64 v[139:140], v[0:1], v[143:144]
	v_fma_f64 v[141:142], v[84:85], s[16:17], -v[145:146]
	v_mul_f64 v[143:144], v[82:83], s[38:39]
	v_add_f64 v[137:138], v[137:138], v[20:21]
	v_fma_f64 v[24:25], v[114:115], s[8:9], v[24:25]
	v_add_f64 v[20:21], v[26:27], v[18:19]
	v_fma_f64 v[18:19], v[112:113], s[8:9], -v[28:29]
	v_add_f64 v[22:23], v[30:31], v[22:23]
	v_mul_f64 v[30:31], v[92:93], s[14:15]
	v_add_f64 v[26:27], v[141:142], v[139:140]
	v_fma_f64 v[28:29], v[80:81], s[24:25], -v[143:144]
	v_mul_f64 v[147:148], v[116:117], s[14:15]
	v_fma_f64 v[32:33], v[76:77], s[16:17], -v[32:33]
	v_fma_f64 v[145:146], v[84:85], s[16:17], v[145:146]
	v_add_f64 v[18:19], v[4:5], v[18:19]
	v_add_f64 v[24:25], v[0:1], v[24:25]
	v_mul_f64 v[149:150], v[110:111], s[44:45]
	v_fma_f64 v[135:136], v[108:109], s[8:9], v[135:136]
	v_add_f64 v[26:27], v[28:29], v[26:27]
	v_fma_f64 v[28:29], v[90:91], s[6:7], -v[30:31]
	v_fma_f64 v[139:140], v[78:79], s[6:7], v[147:148]
	v_mul_f64 v[141:142], v[128:129], s[44:45]
	v_add_f64 v[32:33], v[32:33], v[18:19]
	v_fma_f64 v[133:134], v[74:75], s[24:25], -v[133:134]
	v_add_f64 v[24:25], v[145:146], v[24:25]
	v_fma_f64 v[143:144], v[80:81], s[24:25], v[143:144]
	v_add_f64 v[18:19], v[135:136], v[137:138]
	v_add_f64 v[26:27], v[28:29], v[26:27]
	v_fma_f64 v[28:29], v[106:107], s[28:29], -v[149:150]
	v_add_f64 v[22:23], v[139:140], v[22:23]
	v_fma_f64 v[139:140], v[100:101], s[28:29], v[141:142]
	v_mul_f64 v[135:136], v[124:125], s[42:43]
	v_add_f64 v[32:33], v[133:134], v[32:33]
	v_fma_f64 v[133:134], v[78:79], s[6:7], -v[147:148]
	v_add_f64 v[24:25], v[143:144], v[24:25]
	v_fma_f64 v[30:31], v[90:91], s[6:7], v[30:31]
	v_add_f64 v[26:27], v[28:29], v[26:27]
	v_mul_f64 v[28:29], v[130:131], s[14:15]
	v_add_f64 v[22:23], v[139:140], v[22:23]
	v_fma_f64 v[137:138], v[102:103], s[4:5], v[135:136]
	v_mul_f64 v[139:140], v[120:121], s[42:43]
	v_add_f64 v[32:33], v[133:134], v[32:33]
	v_mul_f64 v[133:134], v[118:119], s[14:15]
	v_fma_f64 v[141:142], v[100:101], s[28:29], -v[141:142]
	v_add_f64 v[30:31], v[30:31], v[24:25]
	v_fma_f64 v[143:144], v[106:107], s[28:29], v[149:150]
	v_fma_f64 v[145:146], v[112:113], s[6:7], v[28:29]
	v_mul_f64 v[147:148], v[126:127], s[30:31]
	v_add_f64 v[24:25], v[137:138], v[22:23]
	v_fma_f64 v[22:23], v[108:109], s[4:5], -v[139:140]
	v_fma_f64 v[137:138], v[114:115], s[6:7], -v[133:134]
	v_mul_f64 v[149:150], v[96:97], s[30:31]
	v_add_f64 v[32:33], v[141:142], v[32:33]
	v_add_f64 v[30:31], v[143:144], v[30:31]
	;; [unrolled: 1-line block ×3, first 2 shown]
	v_fma_f64 v[143:144], v[76:77], s[28:29], v[147:148]
	v_mul_f64 v[145:146], v[122:123], s[40:41]
	v_fma_f64 v[135:136], v[102:103], s[4:5], -v[135:136]
	v_add_f64 v[137:138], v[0:1], v[137:138]
	v_fma_f64 v[151:152], v[84:85], s[28:29], -v[149:150]
	v_mul_f64 v[153:154], v[82:83], s[40:41]
	v_fma_f64 v[139:140], v[108:109], s[4:5], v[139:140]
	v_add_f64 v[22:23], v[22:23], v[26:27]
	v_add_f64 v[26:27], v[143:144], v[141:142]
	v_fma_f64 v[141:142], v[74:75], s[8:9], v[145:146]
	v_mul_f64 v[143:144], v[116:117], s[38:39]
	v_add_f64 v[32:33], v[135:136], v[32:33]
	v_add_f64 v[135:136], v[151:152], v[137:138]
	v_fma_f64 v[137:138], v[80:81], s[8:9], -v[153:154]
	v_add_f64 v[30:31], v[139:140], v[30:31]
	v_fma_f64 v[28:29], v[112:113], s[6:7], -v[28:29]
	v_mul_f64 v[139:140], v[92:93], s[38:39]
	v_add_f64 v[26:27], v[141:142], v[26:27]
	v_fma_f64 v[141:142], v[78:79], s[24:25], v[143:144]
	v_fma_f64 v[133:134], v[114:115], s[6:7], v[133:134]
	v_mul_f64 v[151:152], v[128:129], s[18:19]
	v_add_f64 v[135:136], v[137:138], v[135:136]
	v_fma_f64 v[137:138], v[76:77], s[28:29], -v[147:148]
	v_add_f64 v[28:29], v[4:5], v[28:29]
	v_fma_f64 v[147:148], v[90:91], s[24:25], -v[139:140]
	v_mul_f64 v[155:156], v[110:111], s[18:19]
	v_fma_f64 v[149:150], v[84:85], s[28:29], v[149:150]
	v_add_f64 v[133:134], v[0:1], v[133:134]
	v_add_f64 v[26:27], v[141:142], v[26:27]
	v_fma_f64 v[141:142], v[100:101], s[4:5], v[151:152]
	v_mul_f64 v[157:158], v[124:125], s[22:23]
	v_add_f64 v[28:29], v[137:138], v[28:29]
	v_fma_f64 v[137:138], v[74:75], s[8:9], -v[145:146]
	v_add_f64 v[135:136], v[147:148], v[135:136]
	v_fma_f64 v[145:146], v[106:107], s[4:5], -v[155:156]
	v_add_f64 v[133:134], v[149:150], v[133:134]
	v_fma_f64 v[147:148], v[80:81], s[8:9], v[153:154]
	v_add_f64 v[26:27], v[141:142], v[26:27]
	v_fma_f64 v[141:142], v[102:103], s[16:17], v[157:158]
	v_mul_f64 v[149:150], v[120:121], s[22:23]
	v_add_f64 v[137:138], v[137:138], v[28:29]
	v_fma_f64 v[143:144], v[78:79], s[24:25], -v[143:144]
	v_mul_f64 v[153:154], v[130:131], s[18:19]
	v_add_f64 v[135:136], v[145:146], v[135:136]
	v_add_f64 v[133:134], v[147:148], v[133:134]
	v_fma_f64 v[139:140], v[90:91], s[24:25], v[139:140]
	v_add_f64 v[28:29], v[141:142], v[26:27]
	v_fma_f64 v[26:27], v[108:109], s[16:17], -v[149:150]
	v_mul_f64 v[141:142], v[118:119], s[18:19]
	v_add_f64 v[137:138], v[143:144], v[137:138]
	v_fma_f64 v[143:144], v[112:113], s[4:5], v[153:154]
	v_mul_f64 v[145:146], v[126:127], s[20:21]
	v_fma_f64 v[147:148], v[100:101], s[4:5], -v[151:152]
	v_add_f64 v[133:134], v[139:140], v[133:134]
	v_fma_f64 v[139:140], v[106:107], s[4:5], v[155:156]
	v_add_f64 v[26:27], v[26:27], v[135:136]
	v_fma_f64 v[135:136], v[114:115], s[4:5], -v[141:142]
	v_mul_f64 v[151:152], v[96:97], s[20:21]
	v_add_f64 v[143:144], v[4:5], v[143:144]
	v_fma_f64 v[155:156], v[76:77], s[8:9], v[145:146]
	v_mul_f64 v[159:160], v[122:123], s[30:31]
	v_add_f64 v[137:138], v[147:148], v[137:138]
	v_add_f64 v[133:134], v[139:140], v[133:134]
	v_fma_f64 v[139:140], v[102:103], s[16:17], -v[157:158]
	v_add_f64 v[147:148], v[0:1], v[135:136]
	v_fma_f64 v[157:158], v[84:85], s[8:9], -v[151:152]
	v_mul_f64 v[161:162], v[82:83], s[30:31]
	v_add_f64 v[143:144], v[155:156], v[143:144]
	v_fma_f64 v[155:156], v[74:75], s[28:29], v[159:160]
	v_mul_f64 v[163:164], v[116:117], s[36:37]
	v_fma_f64 v[145:146], v[76:77], s[8:9], -v[145:146]
	v_add_f64 v[135:136], v[139:140], v[137:138]
	v_fma_f64 v[137:138], v[112:113], s[4:5], -v[153:154]
	v_add_f64 v[139:140], v[157:158], v[147:148]
	v_fma_f64 v[147:148], v[80:81], s[28:29], -v[161:162]
	v_mul_f64 v[153:154], v[92:93], s[36:37]
	v_add_f64 v[143:144], v[155:156], v[143:144]
	v_fma_f64 v[155:156], v[78:79], s[16:17], v[163:164]
	v_fma_f64 v[141:142], v[114:115], s[4:5], v[141:142]
	v_mul_f64 v[157:158], v[128:129], s[34:35]
	v_add_f64 v[137:138], v[4:5], v[137:138]
	v_mul_f64 v[165:166], v[110:111], s[34:35]
	v_add_f64 v[139:140], v[147:148], v[139:140]
	v_fma_f64 v[147:148], v[90:91], s[16:17], -v[153:154]
	v_fma_f64 v[151:152], v[84:85], s[8:9], v[151:152]
	v_add_f64 v[143:144], v[155:156], v[143:144]
	v_add_f64 v[141:142], v[0:1], v[141:142]
	v_fma_f64 v[155:156], v[100:101], s[6:7], v[157:158]
	v_add_f64 v[137:138], v[145:146], v[137:138]
	v_fma_f64 v[145:146], v[74:75], s[28:29], -v[159:160]
	v_mul_f64 v[159:160], v[124:125], s[38:39]
	v_add_f64 v[139:140], v[147:148], v[139:140]
	v_fma_f64 v[147:148], v[106:107], s[6:7], -v[165:166]
	v_mul_f64 v[130:131], v[130:131], s[26:27]
	v_add_f64 v[141:142], v[151:152], v[141:142]
	v_fma_f64 v[151:152], v[80:81], s[28:29], v[161:162]
	v_add_f64 v[143:144], v[155:156], v[143:144]
	v_add_f64 v[137:138], v[145:146], v[137:138]
	v_fma_f64 v[145:146], v[78:79], s[16:17], -v[163:164]
	v_add_f64 v[104:105], v[4:5], v[104:105]
	v_add_f64 v[147:148], v[147:148], v[139:140]
	v_fma_f64 v[139:140], v[102:103], s[24:25], v[159:160]
	v_add_f64 v[94:95], v[0:1], v[94:95]
	v_add_f64 v[141:142], v[151:152], v[141:142]
	v_fma_f64 v[151:152], v[90:91], s[16:17], v[153:154]
	v_fma_f64 v[153:154], v[100:101], s[6:7], -v[157:158]
	v_add_f64 v[145:146], v[145:146], v[137:138]
	v_mul_f64 v[126:127], v[126:127], s[18:19]
	v_add_f64 v[98:99], v[98:99], v[104:105]
	v_add_f64 v[139:140], v[139:140], v[143:144]
	v_fma_f64 v[143:144], v[112:113], s[24:25], v[130:131]
	v_add_f64 v[88:89], v[88:89], v[94:95]
	v_add_f64 v[141:142], v[151:152], v[141:142]
	v_mul_f64 v[122:123], v[122:123], s[14:15]
	v_add_f64 v[145:146], v[153:154], v[145:146]
	v_fma_f64 v[153:154], v[76:77], s[4:5], v[126:127]
	v_add_f64 v[86:87], v[86:87], v[98:99]
	v_mul_f64 v[104:105], v[118:119], s[26:27]
	v_add_f64 v[151:152], v[4:5], v[143:144]
	v_add_f64 v[72:73], v[72:73], v[88:89]
	v_mul_f64 v[116:117], v[116:117], s[20:21]
	v_fma_f64 v[118:119], v[74:75], s[6:7], v[122:123]
	v_fma_f64 v[98:99], v[112:113], s[24:25], -v[130:131]
	v_fma_f64 v[76:77], v[76:77], s[4:5], -v[126:127]
	v_add_f64 v[70:71], v[70:71], v[86:87]
	v_fma_f64 v[112:113], v[114:115], s[24:25], -v[104:105]
	v_add_f64 v[94:95], v[153:154], v[151:152]
	v_add_f64 v[68:69], v[68:69], v[72:73]
	v_fma_f64 v[104:105], v[114:115], s[24:25], v[104:105]
	v_mul_f64 v[114:115], v[128:129], s[22:23]
	v_add_f64 v[4:5], v[4:5], v[98:99]
	v_mul_f64 v[82:83], v[82:83], s[14:15]
	v_add_f64 v[66:67], v[66:67], v[70:71]
	;; [unrolled: 2-line block ×3, first 2 shown]
	v_fma_f64 v[94:95], v[78:79], s[8:9], v[116:117]
	v_add_f64 v[64:65], v[64:65], v[68:69]
	v_add_f64 v[86:87], v[0:1], v[112:113]
	v_add_f64 v[0:1], v[0:1], v[104:105]
	v_fma_f64 v[74:75], v[74:75], s[6:7], -v[122:123]
	v_add_f64 v[62:63], v[62:63], v[66:67]
	v_fma_f64 v[66:67], v[84:85], s[4:5], -v[70:71]
	v_fma_f64 v[70:71], v[84:85], s[4:5], v[70:71]
	v_add_f64 v[72:73], v[94:95], v[88:89]
	v_fma_f64 v[88:89], v[100:101], s[16:17], v[114:115]
	v_mul_f64 v[94:95], v[124:125], s[30:31]
	v_add_f64 v[64:65], v[58:59], v[64:65]
	v_add_f64 v[4:5], v[76:77], v[4:5]
	;; [unrolled: 1-line block ×4, first 2 shown]
	v_fma_f64 v[76:77], v[80:81], s[6:7], v[82:83]
	v_add_f64 v[0:1], v[70:71], v[0:1]
	v_add_f64 v[68:69], v[88:89], v[72:73]
	v_fma_f64 v[72:73], v[102:103], s[28:29], v[94:95]
	v_add_f64 v[50:51], v[50:51], v[64:65]
	v_fma_f64 v[64:65], v[80:81], s[6:7], -v[82:83]
	v_add_f64 v[46:47], v[46:47], v[60:61]
	v_add_f64 v[4:5], v[74:75], v[4:5]
	v_mul_f64 v[66:67], v[120:121], s[30:31]
	v_add_f64 v[0:1], v[76:77], v[0:1]
	v_mul_f64 v[167:168], v[120:121], s[38:39]
	v_add_f64 v[58:59], v[72:73], v[68:69]
	v_mul_f64 v[68:69], v[92:93], s[20:21]
	v_add_f64 v[40:41], v[40:41], v[50:51]
	v_mul_f64 v[72:73], v[110:111], s[22:23]
	v_add_f64 v[62:63], v[64:65], v[62:63]
	v_fma_f64 v[50:51], v[78:79], s[8:9], -v[116:117]
	v_add_f64 v[46:47], v[48:49], v[46:47]
	v_mul_lo_u32 v98, s1, v54
	v_mul_lo_u32 v96, s0, v55
	v_fma_f64 v[64:65], v[90:91], s[8:9], v[68:69]
	v_add_f64 v[38:39], v[38:39], v[40:41]
	v_fma_f64 v[40:41], v[100:101], s[16:17], -v[114:115]
	v_mad_u64_u32 v[54:55], s[0:1], s0, v54, 0
	v_add_f64 v[4:5], v[50:51], v[4:5]
	v_fma_f64 v[50:51], v[106:107], s[16:17], v[72:73]
	v_add_f64 v[46:47], v[56:57], v[46:47]
	v_add_f64 v[0:1], v[64:65], v[0:1]
	;; [unrolled: 1-line block ×3, first 2 shown]
	v_fma_f64 v[42:43], v[102:103], s[28:29], -v[94:95]
	v_fma_f64 v[155:156], v[108:109], s[24:25], -v[167:168]
	v_add3_u32 v55, v55, v96, v98
	v_add_f64 v[4:5], v[40:41], v[4:5]
	v_fma_f64 v[40:41], v[108:109], s[28:29], v[66:67]
	v_add_f64 v[44:45], v[44:45], v[46:47]
	v_add_f64 v[0:1], v[50:51], v[0:1]
	v_mad_u64_u32 v[46:47], s[0:1], s2, v132, 0
	v_add_f64 v[50:51], v[36:37], v[38:39]
	v_fma_f64 v[149:150], v[108:109], s[16:17], v[149:150]
	v_add_f64 v[38:39], v[42:43], v[4:5]
	v_mov_b32_e32 v4, v47
	v_mad_u64_u32 v[42:43], s[0:1], s3, v132, v[4:5]
	v_add_f64 v[36:37], v[40:41], v[0:1]
	v_lshlrev_b64 v[0:1], 4, v[54:55]
	v_add_f64 v[4:5], v[34:35], v[44:45]
	v_mov_b32_e32 v34, s11
	v_add_co_u32_e32 v35, vcc, s10, v0
	v_addc_co_u32_e32 v34, vcc, v34, v1, vcc
	v_lshlrev_b64 v[0:1], 4, v[52:53]
	v_add_f64 v[137:138], v[155:156], v[147:148]
	v_fma_f64 v[147:148], v[106:107], s[6:7], v[165:166]
	v_add_co_u32_e32 v43, vcc, v35, v0
	v_add_u32_e32 v40, 0xa9, v132
	v_addc_co_u32_e32 v44, vcc, v34, v1, vcc
	v_mad_u64_u32 v[34:35], s[0:1], s2, v40, 0
	v_add_f64 v[2:3], v[2:3], v[50:51]
	v_mov_b32_e32 v47, v42
	v_mad_u64_u32 v[40:41], s[0:1], s3, v40, v[35:36]
	v_add_u32_e32 v45, 0x152, v132
	v_lshlrev_b64 v[0:1], 4, v[46:47]
	v_mad_u64_u32 v[41:42], s[0:1], s2, v45, 0
	v_add_f64 v[133:134], v[149:150], v[133:134]
	v_fma_f64 v[149:150], v[102:103], s[24:25], -v[159:160]
	v_add_f64 v[141:142], v[147:148], v[141:142]
	v_fma_f64 v[147:148], v[108:109], s[24:25], v[167:168]
	v_add_co_u32_e32 v0, vcc, v43, v0
	v_addc_co_u32_e32 v1, vcc, v44, v1, vcc
	global_store_dwordx4 v[0:1], v[2:5], off
	v_mov_b32_e32 v35, v40
	v_mov_b32_e32 v2, v42
	v_mad_u64_u32 v[2:3], s[0:1], s3, v45, v[2:3]
	v_add_u32_e32 v4, 0x1fb, v132
	v_add_f64 v[143:144], v[149:150], v[145:146]
	v_mov_b32_e32 v42, v2
	v_mad_u64_u32 v[2:3], s[0:1], s2, v4, 0
	v_add_f64 v[141:142], v[147:148], v[141:142]
	v_lshlrev_b64 v[0:1], 4, v[34:35]
	v_mad_u64_u32 v[3:4], s[0:1], s3, v4, v[3:4]
	v_add_co_u32_e32 v0, vcc, v43, v0
	v_addc_co_u32_e32 v1, vcc, v44, v1, vcc
	v_add_u32_e32 v34, 0x2a4, v132
	global_store_dwordx4 v[0:1], v[36:39], off
	v_lshlrev_b64 v[0:1], 4, v[41:42]
	v_mad_u64_u32 v[4:5], s[0:1], s2, v34, 0
	v_add_co_u32_e32 v0, vcc, v43, v0
	v_addc_co_u32_e32 v1, vcc, v44, v1, vcc
	global_store_dwordx4 v[0:1], v[141:144], off
	v_lshlrev_b64 v[0:1], 4, v[2:3]
	v_mov_b32_e32 v2, v5
	v_mad_u64_u32 v[2:3], s[0:1], s3, v34, v[2:3]
	v_add_co_u32_e32 v0, vcc, v43, v0
	v_addc_co_u32_e32 v1, vcc, v44, v1, vcc
	v_mov_b32_e32 v5, v2
	global_store_dwordx4 v[0:1], v[133:136], off
	v_lshlrev_b64 v[0:1], 4, v[4:5]
	v_add_u32_e32 v4, 0x34d, v132
	v_mad_u64_u32 v[2:3], s[0:1], s2, v4, 0
	v_add_u32_e32 v34, 0x3f6, v132
	v_add_co_u32_e32 v0, vcc, v43, v0
	v_mad_u64_u32 v[3:4], s[0:1], s3, v4, v[3:4]
	v_mad_u64_u32 v[4:5], s[0:1], s2, v34, 0
	v_addc_co_u32_e32 v1, vcc, v44, v1, vcc
	global_store_dwordx4 v[0:1], v[30:33], off
	v_lshlrev_b64 v[0:1], 4, v[2:3]
	v_mov_b32_e32 v2, v5
	v_mad_u64_u32 v[2:3], s[0:1], s3, v34, v[2:3]
	v_add_co_u32_e32 v0, vcc, v43, v0
	v_addc_co_u32_e32 v1, vcc, v44, v1, vcc
	v_mov_b32_e32 v5, v2
	global_store_dwordx4 v[0:1], v[18:21], off
	v_lshlrev_b64 v[0:1], 4, v[4:5]
	v_add_u32_e32 v4, 0x49f, v132
	v_mad_u64_u32 v[2:3], s[0:1], s2, v4, 0
	v_add_u32_e32 v18, 0x548, v132
	v_add_co_u32_e32 v0, vcc, v43, v0
	v_mad_u64_u32 v[3:4], s[0:1], s3, v4, v[3:4]
	v_mad_u64_u32 v[4:5], s[0:1], s2, v18, 0
	v_addc_co_u32_e32 v1, vcc, v44, v1, vcc
	global_store_dwordx4 v[0:1], v[10:13], off
	v_lshlrev_b64 v[0:1], 4, v[2:3]
	v_mov_b32_e32 v2, v5
	v_mad_u64_u32 v[2:3], s[0:1], s3, v18, v[2:3]
	v_add_co_u32_e32 v0, vcc, v43, v0
	v_addc_co_u32_e32 v1, vcc, v44, v1, vcc
	v_mov_b32_e32 v5, v2
	global_store_dwordx4 v[0:1], v[6:9], off
	v_lshlrev_b64 v[0:1], 4, v[4:5]
	v_add_u32_e32 v4, 0x5f1, v132
	v_mad_u64_u32 v[2:3], s[0:1], s2, v4, 0
	v_fma_f64 v[60:61], v[90:91], s[8:9], -v[68:69]
	v_add_u32_e32 v6, 0x69a, v132
	v_mad_u64_u32 v[3:4], s[0:1], s3, v4, v[3:4]
	v_mad_u64_u32 v[4:5], s[0:1], s2, v6, 0
	v_add_co_u32_e32 v0, vcc, v43, v0
	v_addc_co_u32_e32 v1, vcc, v44, v1, vcc
	global_store_dwordx4 v[0:1], v[14:17], off
	v_lshlrev_b64 v[0:1], 4, v[2:3]
	v_mov_b32_e32 v2, v5
	v_mad_u64_u32 v[2:3], s[0:1], s3, v6, v[2:3]
	v_fma_f64 v[48:49], v[106:107], s[16:17], -v[72:73]
	v_add_f64 v[60:61], v[60:61], v[62:63]
	v_add_co_u32_e32 v0, vcc, v43, v0
	v_addc_co_u32_e32 v1, vcc, v44, v1, vcc
	v_mov_b32_e32 v5, v2
	global_store_dwordx4 v[0:1], v[22:25], off
	v_lshlrev_b64 v[0:1], 4, v[4:5]
	v_add_u32_e32 v4, 0x743, v132
	v_mad_u64_u32 v[2:3], s[0:1], s2, v4, 0
	v_fma_f64 v[56:57], v[108:109], s[28:29], -v[66:67]
	v_add_f64 v[48:49], v[48:49], v[60:61]
	v_mad_u64_u32 v[3:4], s[0:1], s3, v4, v[3:4]
	v_add_u32_e32 v6, 0x7ec, v132
	v_mad_u64_u32 v[4:5], s[0:1], s2, v6, 0
	v_add_co_u32_e32 v0, vcc, v43, v0
	v_addc_co_u32_e32 v1, vcc, v44, v1, vcc
	global_store_dwordx4 v[0:1], v[26:29], off
	v_lshlrev_b64 v[0:1], 4, v[2:3]
	v_mov_b32_e32 v2, v5
	v_mad_u64_u32 v[2:3], s[0:1], s3, v6, v[2:3]
	v_add_f64 v[56:57], v[56:57], v[48:49]
	v_add_co_u32_e32 v0, vcc, v43, v0
	v_addc_co_u32_e32 v1, vcc, v44, v1, vcc
	v_mov_b32_e32 v5, v2
	global_store_dwordx4 v[0:1], v[137:140], off
	v_lshlrev_b64 v[0:1], 4, v[4:5]
	v_add_co_u32_e32 v0, vcc, v43, v0
	v_addc_co_u32_e32 v1, vcc, v44, v1, vcc
	global_store_dwordx4 v[0:1], v[56:59], off
.LBB0_15:
	s_endpgm
	.section	.rodata,"a",@progbits
	.p2align	6, 0x0
	.amdhsa_kernel fft_rtc_back_len2197_factors_13_13_13_wgs_169_tpt_169_halfLds_dp_op_CI_CI_sbrr_dirReg
		.amdhsa_group_segment_fixed_size 0
		.amdhsa_private_segment_fixed_size 0
		.amdhsa_kernarg_size 104
		.amdhsa_user_sgpr_count 6
		.amdhsa_user_sgpr_private_segment_buffer 1
		.amdhsa_user_sgpr_dispatch_ptr 0
		.amdhsa_user_sgpr_queue_ptr 0
		.amdhsa_user_sgpr_kernarg_segment_ptr 1
		.amdhsa_user_sgpr_dispatch_id 0
		.amdhsa_user_sgpr_flat_scratch_init 0
		.amdhsa_user_sgpr_private_segment_size 0
		.amdhsa_uses_dynamic_stack 0
		.amdhsa_system_sgpr_private_segment_wavefront_offset 0
		.amdhsa_system_sgpr_workgroup_id_x 1
		.amdhsa_system_sgpr_workgroup_id_y 0
		.amdhsa_system_sgpr_workgroup_id_z 0
		.amdhsa_system_sgpr_workgroup_info 0
		.amdhsa_system_vgpr_workitem_id 0
		.amdhsa_next_free_vgpr 169
		.amdhsa_next_free_sgpr 48
		.amdhsa_reserve_vcc 1
		.amdhsa_reserve_flat_scratch 0
		.amdhsa_float_round_mode_32 0
		.amdhsa_float_round_mode_16_64 0
		.amdhsa_float_denorm_mode_32 3
		.amdhsa_float_denorm_mode_16_64 3
		.amdhsa_dx10_clamp 1
		.amdhsa_ieee_mode 1
		.amdhsa_fp16_overflow 0
		.amdhsa_exception_fp_ieee_invalid_op 0
		.amdhsa_exception_fp_denorm_src 0
		.amdhsa_exception_fp_ieee_div_zero 0
		.amdhsa_exception_fp_ieee_overflow 0
		.amdhsa_exception_fp_ieee_underflow 0
		.amdhsa_exception_fp_ieee_inexact 0
		.amdhsa_exception_int_div_zero 0
	.end_amdhsa_kernel
	.text
.Lfunc_end0:
	.size	fft_rtc_back_len2197_factors_13_13_13_wgs_169_tpt_169_halfLds_dp_op_CI_CI_sbrr_dirReg, .Lfunc_end0-fft_rtc_back_len2197_factors_13_13_13_wgs_169_tpt_169_halfLds_dp_op_CI_CI_sbrr_dirReg
                                        ; -- End function
	.section	.AMDGPU.csdata,"",@progbits
; Kernel info:
; codeLenInByte = 14704
; NumSgprs: 52
; NumVgprs: 169
; ScratchSize: 0
; MemoryBound: 1
; FloatMode: 240
; IeeeMode: 1
; LDSByteSize: 0 bytes/workgroup (compile time only)
; SGPRBlocks: 6
; VGPRBlocks: 42
; NumSGPRsForWavesPerEU: 52
; NumVGPRsForWavesPerEU: 169
; Occupancy: 1
; WaveLimiterHint : 1
; COMPUTE_PGM_RSRC2:SCRATCH_EN: 0
; COMPUTE_PGM_RSRC2:USER_SGPR: 6
; COMPUTE_PGM_RSRC2:TRAP_HANDLER: 0
; COMPUTE_PGM_RSRC2:TGID_X_EN: 1
; COMPUTE_PGM_RSRC2:TGID_Y_EN: 0
; COMPUTE_PGM_RSRC2:TGID_Z_EN: 0
; COMPUTE_PGM_RSRC2:TIDIG_COMP_CNT: 0
	.type	__hip_cuid_dd24b30b6584012a,@object ; @__hip_cuid_dd24b30b6584012a
	.section	.bss,"aw",@nobits
	.globl	__hip_cuid_dd24b30b6584012a
__hip_cuid_dd24b30b6584012a:
	.byte	0                               ; 0x0
	.size	__hip_cuid_dd24b30b6584012a, 1

	.ident	"AMD clang version 19.0.0git (https://github.com/RadeonOpenCompute/llvm-project roc-6.4.0 25133 c7fe45cf4b819c5991fe208aaa96edf142730f1d)"
	.section	".note.GNU-stack","",@progbits
	.addrsig
	.addrsig_sym __hip_cuid_dd24b30b6584012a
	.amdgpu_metadata
---
amdhsa.kernels:
  - .args:
      - .actual_access:  read_only
        .address_space:  global
        .offset:         0
        .size:           8
        .value_kind:     global_buffer
      - .offset:         8
        .size:           8
        .value_kind:     by_value
      - .actual_access:  read_only
        .address_space:  global
        .offset:         16
        .size:           8
        .value_kind:     global_buffer
      - .actual_access:  read_only
        .address_space:  global
        .offset:         24
        .size:           8
        .value_kind:     global_buffer
      - .actual_access:  read_only
        .address_space:  global
        .offset:         32
        .size:           8
        .value_kind:     global_buffer
      - .offset:         40
        .size:           8
        .value_kind:     by_value
      - .actual_access:  read_only
        .address_space:  global
        .offset:         48
        .size:           8
        .value_kind:     global_buffer
      - .actual_access:  read_only
        .address_space:  global
        .offset:         56
        .size:           8
        .value_kind:     global_buffer
      - .offset:         64
        .size:           4
        .value_kind:     by_value
      - .actual_access:  read_only
        .address_space:  global
        .offset:         72
        .size:           8
        .value_kind:     global_buffer
      - .actual_access:  read_only
        .address_space:  global
        .offset:         80
        .size:           8
        .value_kind:     global_buffer
      - .actual_access:  read_only
        .address_space:  global
        .offset:         88
        .size:           8
        .value_kind:     global_buffer
      - .actual_access:  write_only
        .address_space:  global
        .offset:         96
        .size:           8
        .value_kind:     global_buffer
    .group_segment_fixed_size: 0
    .kernarg_segment_align: 8
    .kernarg_segment_size: 104
    .language:       OpenCL C
    .language_version:
      - 2
      - 0
    .max_flat_workgroup_size: 169
    .name:           fft_rtc_back_len2197_factors_13_13_13_wgs_169_tpt_169_halfLds_dp_op_CI_CI_sbrr_dirReg
    .private_segment_fixed_size: 0
    .sgpr_count:     52
    .sgpr_spill_count: 0
    .symbol:         fft_rtc_back_len2197_factors_13_13_13_wgs_169_tpt_169_halfLds_dp_op_CI_CI_sbrr_dirReg.kd
    .uniform_work_group_size: 1
    .uses_dynamic_stack: false
    .vgpr_count:     169
    .vgpr_spill_count: 0
    .wavefront_size: 64
amdhsa.target:   amdgcn-amd-amdhsa--gfx906
amdhsa.version:
  - 1
  - 2
...

	.end_amdgpu_metadata
